;; amdgpu-corpus repo=ROCm/rocFFT kind=compiled arch=gfx1030 opt=O3
	.text
	.amdgcn_target "amdgcn-amd-amdhsa--gfx1030"
	.amdhsa_code_object_version 6
	.protected	bluestein_single_fwd_len363_dim1_half_op_CI_CI ; -- Begin function bluestein_single_fwd_len363_dim1_half_op_CI_CI
	.globl	bluestein_single_fwd_len363_dim1_half_op_CI_CI
	.p2align	8
	.type	bluestein_single_fwd_len363_dim1_half_op_CI_CI,@function
bluestein_single_fwd_len363_dim1_half_op_CI_CI: ; @bluestein_single_fwd_len363_dim1_half_op_CI_CI
; %bb.0:
	s_load_dwordx4 s[12:15], s[4:5], 0x28
	v_mul_u32_u24_e32 v1, 0x7c2, v0
	v_lshrrev_b32_e32 v1, 16, v1
	v_mad_u64_u32 v[8:9], null, s6, 3, v[1:2]
	v_mov_b32_e32 v9, 0
                                        ; kill: def $vgpr2 killed $sgpr0 killed $exec
	s_mov_b32 s0, exec_lo
	s_waitcnt lgkmcnt(0)
	v_cmpx_gt_u64_e64 s[12:13], v[8:9]
	s_cbranch_execz .LBB0_10
; %bb.1:
	s_clause 0x1
	s_load_dwordx4 s[8:11], s[4:5], 0x18
	s_load_dwordx4 s[0:3], s[4:5], 0x0
	v_mul_lo_u16 v1, v1, 33
	v_mov_b32_e32 v7, 0xb853
	v_mov_b32_e32 v10, 0xbbeb
	s_load_dwordx2 s[4:5], s[4:5], 0x38
	v_sub_nc_u16 v9, v0, v1
	v_and_b32_e32 v40, 0xffff, v9
	v_lshlrev_b32_e32 v45, 2, v40
	s_waitcnt lgkmcnt(0)
	s_load_dwordx4 s[16:19], s[8:9], 0x0
	s_clause 0x1
	global_load_dword v43, v45, s[0:1]
	global_load_dword v42, v45, s[0:1] offset:132
	s_waitcnt lgkmcnt(0)
	v_mad_u64_u32 v[0:1], null, s18, v8, 0
	v_mad_u64_u32 v[2:3], null, s16, v40, 0
	s_mul_i32 s6, s17, 0x84
	s_mul_hi_u32 s7, s16, 0x84
	s_mul_i32 s8, s16, 0x84
	s_add_i32 s7, s7, s6
	v_mad_u64_u32 v[4:5], null, s19, v8, v[1:2]
	v_mad_u64_u32 v[5:6], null, s17, v40, v[3:4]
	v_mov_b32_e32 v1, v4
	v_lshlrev_b64 v[0:1], 2, v[0:1]
	v_mov_b32_e32 v3, v5
	v_add_co_u32 v0, vcc_lo, s14, v0
	v_lshlrev_b64 v[2:3], 2, v[2:3]
	v_add_co_ci_u32_e32 v1, vcc_lo, s15, v1, vcc_lo
	v_add_co_u32 v0, vcc_lo, v0, v2
	v_add_co_ci_u32_e32 v1, vcc_lo, v1, v3, vcc_lo
	v_add_co_u32 v2, vcc_lo, v0, s8
	v_add_co_ci_u32_e32 v3, vcc_lo, s7, v1, vcc_lo
	s_clause 0x1
	global_load_dword v4, v[0:1], off
	global_load_dword v5, v[2:3], off
	v_add_co_u32 v0, vcc_lo, v2, s8
	v_add_co_ci_u32_e32 v1, vcc_lo, s7, v3, vcc_lo
	v_add_co_u32 v2, vcc_lo, v0, s8
	v_add_co_ci_u32_e32 v3, vcc_lo, s7, v1, vcc_lo
	global_load_dword v6, v[0:1], off
	v_add_co_u32 v0, vcc_lo, v2, s8
	v_add_co_ci_u32_e32 v1, vcc_lo, s7, v3, vcc_lo
	s_clause 0x1
	global_load_dword v41, v45, s[0:1] offset:264
	global_load_dword v39, v45, s[0:1] offset:396
	s_clause 0x1
	global_load_dword v11, v[2:3], off
	global_load_dword v12, v[0:1], off
	v_add_co_u32 v0, vcc_lo, v0, s8
	v_add_co_ci_u32_e32 v1, vcc_lo, s7, v1, vcc_lo
	s_clause 0x3
	global_load_dword v38, v45, s[0:1] offset:528
	global_load_dword v37, v45, s[0:1] offset:660
	;; [unrolled: 1-line block ×4, first 2 shown]
	v_add_co_u32 v2, vcc_lo, v0, s8
	v_add_co_ci_u32_e32 v3, vcc_lo, s7, v1, vcc_lo
	global_load_dword v13, v[0:1], off
	v_add_co_u32 v0, vcc_lo, v2, s8
	v_add_co_ci_u32_e32 v1, vcc_lo, s7, v3, vcc_lo
	global_load_dword v14, v[2:3], off
	;; [unrolled: 3-line block ×4, first 2 shown]
	v_add_co_u32 v2, vcc_lo, v0, s8
	v_add_co_ci_u32_e32 v3, vcc_lo, s7, v1, vcc_lo
	global_load_dword v34, v45, s[0:1] offset:1056
	global_load_dword v0, v[0:1], off
	global_load_dword v1, v[2:3], off
	s_clause 0x1
	global_load_dword v32, v45, s[0:1] offset:1188
	global_load_dword v31, v45, s[0:1] offset:1320
	v_mul_hi_u32 v2, 0xaaaaaaab, v8
	s_load_dwordx4 s[8:11], s[10:11], 0x0
	v_cmp_gt_u16_e32 vcc_lo, 22, v9
	v_lshrrev_b32_e32 v2, 1, v2
	v_lshl_add_u32 v2, v2, 1, v2
	v_sub_nc_u32_e32 v2, v8, v2
	v_mul_u32_u24_e32 v2, 0x16b, v2
	v_lshlrev_b32_e32 v44, 2, v2
	v_add_nc_u32_e32 v33, v45, v44
	v_add_nc_u32_e32 v19, 0x400, v33
	s_waitcnt vmcnt(19)
	v_lshrrev_b32_e32 v2, 16, v4
	v_mul_f16_sdwa v3, v43, v4 dst_sel:DWORD dst_unused:UNUSED_PAD src0_sel:WORD_1 src1_sel:DWORD
	s_waitcnt vmcnt(18)
	v_lshrrev_b32_e32 v18, 16, v5
	v_mul_f16_sdwa v20, v42, v5 dst_sel:DWORD dst_unused:UNUSED_PAD src0_sel:WORD_1 src1_sel:DWORD
	v_mul_f16_sdwa v17, v43, v2 dst_sel:DWORD dst_unused:UNUSED_PAD src0_sel:WORD_1 src1_sel:DWORD
	v_fma_f16 v2, v43, v2, -v3
	v_mul_f16_sdwa v3, v42, v18 dst_sel:DWORD dst_unused:UNUSED_PAD src0_sel:WORD_1 src1_sel:DWORD
	v_fma_f16 v18, v42, v18, -v20
	v_fmac_f16_e32 v17, v43, v4
	s_waitcnt vmcnt(17)
	v_lshrrev_b32_e32 v4, 16, v6
	v_fmac_f16_e32 v3, v42, v5
	s_waitcnt vmcnt(16)
	v_mul_f16_sdwa v20, v41, v6 dst_sel:DWORD dst_unused:UNUSED_PAD src0_sel:WORD_1 src1_sel:DWORD
	v_pack_b32_f16 v2, v17, v2
	s_waitcnt vmcnt(14)
	v_lshrrev_b32_e32 v17, 16, v11
	v_mul_f16_sdwa v5, v41, v4 dst_sel:DWORD dst_unused:UNUSED_PAD src0_sel:WORD_1 src1_sel:DWORD
	v_pack_b32_f16 v3, v3, v18
	v_fma_f16 v4, v41, v4, -v20
	s_waitcnt vmcnt(13)
	v_lshrrev_b32_e32 v18, 16, v12
	v_mul_f16_sdwa v21, v39, v11 dst_sel:DWORD dst_unused:UNUSED_PAD src0_sel:WORD_1 src1_sel:DWORD
	v_fmac_f16_e32 v5, v41, v6
	v_mul_f16_sdwa v6, v39, v17 dst_sel:DWORD dst_unused:UNUSED_PAD src0_sel:WORD_1 src1_sel:DWORD
	s_waitcnt vmcnt(12)
	v_mul_f16_sdwa v20, v38, v12 dst_sel:DWORD dst_unused:UNUSED_PAD src0_sel:WORD_1 src1_sel:DWORD
	ds_write2_b32 v33, v2, v3 offset1:33
	v_mul_f16_sdwa v3, v38, v18 dst_sel:DWORD dst_unused:UNUSED_PAD src0_sel:WORD_1 src1_sel:DWORD
	v_pack_b32_f16 v2, v5, v4
	s_waitcnt vmcnt(8)
	v_lshrrev_b32_e32 v4, 16, v13
	v_fma_f16 v17, v39, v17, -v21
	v_fmac_f16_e32 v6, v39, v11
	v_mul_f16_sdwa v5, v37, v13 dst_sel:DWORD dst_unused:UNUSED_PAD src0_sel:WORD_1 src1_sel:DWORD
	v_fma_f16 v11, v38, v18, -v20
	v_fmac_f16_e32 v3, v38, v12
	v_mul_f16_sdwa v12, v37, v4 dst_sel:DWORD dst_unused:UNUSED_PAD src0_sel:WORD_1 src1_sel:DWORD
	v_pack_b32_f16 v6, v6, v17
	v_fma_f16 v4, v37, v4, -v5
	s_waitcnt vmcnt(7)
	v_lshrrev_b32_e32 v5, 16, v14
	v_mul_f16_sdwa v17, v36, v14 dst_sel:DWORD dst_unused:UNUSED_PAD src0_sel:WORD_1 src1_sel:DWORD
	v_pack_b32_f16 v3, v3, v11
	v_fmac_f16_e32 v12, v37, v13
	s_waitcnt vmcnt(6)
	v_lshrrev_b32_e32 v11, 16, v15
	v_mul_f16_sdwa v13, v36, v5 dst_sel:DWORD dst_unused:UNUSED_PAD src0_sel:WORD_1 src1_sel:DWORD
	v_fma_f16 v5, v36, v5, -v17
	v_mul_f16_sdwa v17, v35, v15 dst_sel:DWORD dst_unused:UNUSED_PAD src0_sel:WORD_1 src1_sel:DWORD
	v_pack_b32_f16 v4, v12, v4
	v_mul_f16_sdwa v12, v35, v11 dst_sel:DWORD dst_unused:UNUSED_PAD src0_sel:WORD_1 src1_sel:DWORD
	v_fmac_f16_e32 v13, v36, v14
	s_waitcnt vmcnt(5)
	v_lshrrev_b32_e32 v14, 16, v16
	v_fma_f16 v11, v35, v11, -v17
	s_waitcnt vmcnt(4)
	v_mul_f16_sdwa v17, v34, v16 dst_sel:DWORD dst_unused:UNUSED_PAD src0_sel:WORD_1 src1_sel:DWORD
	v_fmac_f16_e32 v12, v35, v15
	s_waitcnt vmcnt(3)
	v_lshrrev_b32_e32 v15, 16, v0
	s_waitcnt vmcnt(2)
	v_lshrrev_b32_e32 v20, 16, v1
	v_mul_f16_sdwa v18, v34, v14 dst_sel:DWORD dst_unused:UNUSED_PAD src0_sel:WORD_1 src1_sel:DWORD
	v_fma_f16 v14, v34, v14, -v17
	s_waitcnt vmcnt(1)
	v_mul_f16_sdwa v17, v32, v0 dst_sel:DWORD dst_unused:UNUSED_PAD src0_sel:WORD_1 src1_sel:DWORD
	v_mul_f16_sdwa v21, v32, v15 dst_sel:DWORD dst_unused:UNUSED_PAD src0_sel:WORD_1 src1_sel:DWORD
	s_waitcnt vmcnt(0)
	v_mul_f16_sdwa v22, v31, v1 dst_sel:DWORD dst_unused:UNUSED_PAD src0_sel:WORD_1 src1_sel:DWORD
	v_mul_f16_sdwa v23, v31, v20 dst_sel:DWORD dst_unused:UNUSED_PAD src0_sel:WORD_1 src1_sel:DWORD
	v_fmac_f16_e32 v18, v34, v16
	v_fma_f16 v15, v32, v15, -v17
	v_fmac_f16_e32 v21, v32, v0
	v_fma_f16 v0, v31, v20, -v22
	v_fmac_f16_e32 v23, v31, v1
	v_pack_b32_f16 v1, v13, v5
	v_pack_b32_f16 v5, v12, v11
	v_pack_b32_f16 v11, v18, v14
	v_pack_b32_f16 v12, v21, v15
	v_pack_b32_f16 v0, v23, v0
	ds_write2_b32 v33, v2, v6 offset0:66 offset1:99
	ds_write2_b32 v33, v3, v4 offset0:132 offset1:165
	ds_write2_b32 v33, v1, v5 offset0:198 offset1:231
	ds_write2_b32 v19, v11, v12 offset0:8 offset1:41
	ds_write_b32 v33, v0 offset:1320
	s_waitcnt lgkmcnt(0)
	s_barrier
	buffer_gl0_inv
	ds_read2_b32 v[2:3], v33 offset1:33
	ds_read_b32 v6, v33 offset:1320
	ds_read2_b32 v[4:5], v33 offset0:66 offset1:99
	ds_read2_b32 v[0:1], v19 offset0:8 offset1:41
	;; [unrolled: 1-line block ×4, first 2 shown]
	v_mov_b32_e32 v11, 0xba0c
	v_mov_b32_e32 v17, 0xbb47
	;; [unrolled: 1-line block ×6, first 2 shown]
	v_mul_lo_u16 v16, v9, 11
	s_waitcnt lgkmcnt(0)
	s_barrier
	buffer_gl0_inv
                                        ; kill: def $vgpr9 killed $sgpr0 killed $exec
	v_and_b32_e32 v16, 0xffff, v16
	v_pk_add_f16 v22, v2, v3
	v_pk_add_f16 v23, v6, v3
	v_pk_add_f16 v3, v3, v6 neg_lo:[0,1] neg_hi:[0,1]
	v_pk_add_f16 v25, v1, v4
	v_pk_add_f16 v26, v4, v1 neg_lo:[0,1] neg_hi:[0,1]
	v_pk_add_f16 v4, v22, v4
	v_pk_add_f16 v27, v0, v5
	v_pk_add_f16 v28, v5, v0 neg_lo:[0,1] neg_hi:[0,1]
	v_pk_add_f16 v29, v15, v12
	v_pk_add_f16 v30, v12, v15 neg_lo:[0,1] neg_hi:[0,1]
	;; [unrolled: 2-line block ×3, first 2 shown]
	v_mul_f16_sdwa v22, v3, v7 dst_sel:DWORD dst_unused:UNUSED_PAD src0_sel:WORD_1 src1_sel:DWORD
	v_pk_mul_f16 v49, 0x3abb36a6, v23
	v_lshrrev_b32_e32 v50, 16, v23
	v_mul_f16_e32 v51, 0xbb47, v3
	v_mul_f16_sdwa v52, v3, v10 dst_sel:DWORD dst_unused:UNUSED_PAD src0_sel:WORD_1 src1_sel:DWORD
	v_mul_f16_e32 v53, 0xbbeb, v3
	v_mul_f16_sdwa v54, v3, v11 dst_sel:DWORD dst_unused:UNUSED_PAD src0_sel:WORD_1 src1_sel:DWORD
	v_mul_f16_e32 v55, 0xba0c, v3
	v_pk_mul_f16 v59, 0xbbad, v23 op_sel_hi:[0,1]
	v_pk_add_f16 v4, v4, v5
	v_lshrrev_b32_e32 v56, 16, v25
	v_mul_f16_e32 v57, 0xba0c, v26
	v_mul_f16_e32 v58, 0x3482, v26
	v_mul_f16_e32 v60, 0x3beb, v26
	v_lshrrev_b32_e32 v61, 16, v27
	v_mul_f16_e32 v62, 0x3482, v28
	v_mul_f16_e32 v63, 0x3b47, v28
	v_mul_f16_e32 v64, 0xb853, v28
	;; [unrolled: 4-line block ×4, first 2 shown]
	v_mul_f16_sdwa v17, v26, v17 dst_sel:DWORD dst_unused:UNUSED_PAD src0_sel:WORD_1 src1_sel:DWORD
	v_mul_f16_sdwa v18, v26, v18 dst_sel:DWORD dst_unused:UNUSED_PAD src0_sel:WORD_1 src1_sel:DWORD
	v_mul_f16_sdwa v19, v26, v19 dst_sel:DWORD dst_unused:UNUSED_PAD src0_sel:WORD_1 src1_sel:DWORD
	v_pk_mul_f16 v73, 0x36a6b93d, v25
	v_fma_f16 v5, v23, 0x3abb, -v22
	v_fmac_f16_e32 v22, 0x3abb, v23
	v_pk_fma_f16 v85, 0xbb47b853, v3, v49 op_sel:[0,0,1] op_sel_hi:[1,1,0] neg_lo:[0,1,0] neg_hi:[0,1,0]
	v_pk_fma_f16 v49, 0xbb47b853, v3, v49 op_sel:[0,0,1] op_sel_hi:[1,1,0]
	v_pk_mul_f16 v74, 0x3abb, v25 op_sel_hi:[0,1]
	v_mul_f16_sdwa v10, v28, v10 dst_sel:DWORD dst_unused:UNUSED_PAD src0_sel:WORD_1 src1_sel:DWORD
	v_mul_f16_sdwa v75, v28, v20 dst_sel:DWORD dst_unused:UNUSED_PAD src0_sel:WORD_1 src1_sel:DWORD
	v_mul_f16_sdwa v76, v28, v7 dst_sel:DWORD dst_unused:UNUSED_PAD src0_sel:WORD_1 src1_sel:DWORD
	v_pk_mul_f16 v77, 0xb08ebbad, v27
	v_pk_mul_f16 v78, 0xb93d, v27 op_sel_hi:[0,1]
	v_mul_f16_sdwa v7, v30, v7 dst_sel:DWORD dst_unused:UNUSED_PAD src0_sel:WORD_1 src1_sel:DWORD
	v_mul_f16_sdwa v79, v30, v11 dst_sel:DWORD dst_unused:UNUSED_PAD src0_sel:WORD_1 src1_sel:DWORD
	v_mul_f16_sdwa v80, v30, v21 dst_sel:DWORD dst_unused:UNUSED_PAD src0_sel:WORD_1 src1_sel:DWORD
	v_pk_mul_f16 v81, 0xb93db08e, v29
	;; [unrolled: 5-line block ×3, first 2 shown]
	v_pk_mul_f16 v84, 0xb08e, v47 op_sel_hi:[0,1]
	v_fmamk_f16 v86, v50, 0x36a6, v51
	v_fma_f16 v51, v50, 0x36a6, -v51
	v_fma_f16 v87, v23, 0xb08e, -v52
	v_fmamk_f16 v88, v50, 0xb08e, v53
	v_fmac_f16_e32 v52, 0xb08e, v23
	v_fma_f16 v53, v50, 0xb08e, -v53
	v_fma_f16 v89, v23, 0xb93d, -v54
	v_fmac_f16_e32 v54, 0xb93d, v23
	v_fmamk_f16 v23, v50, 0xb93d, v55
	v_fma_f16 v50, v50, 0xb93d, -v55
	v_pk_fma_f16 v55, 0xb482, v3, v59 op_sel:[0,0,1] op_sel_hi:[0,1,0] neg_lo:[0,1,0] neg_hi:[0,1,0]
	v_pk_add_f16 v4, v4, v12
	v_alignbit_b32 v24, s0, v2, 16
	v_pk_fma_f16 v3, 0xb482, v3, v59 op_sel:[0,0,1] op_sel_hi:[0,1,0]
	v_fmamk_f16 v59, v56, 0xb93d, v57
	v_fma_f16 v57, v56, 0xb93d, -v57
	v_fmamk_f16 v90, v56, 0xbbad, v58
	v_fma_f16 v58, v56, 0xbbad, -v58
	;; [unrolled: 2-line block ×12, first 2 shown]
	v_fma_f16 v72, v25, 0x36a6, -v17
	v_fmac_f16_e32 v17, 0x36a6, v25
	v_fma_f16 v98, v25, 0xbbad, -v18
	v_fmac_f16_e32 v18, 0xbbad, v25
	;; [unrolled: 2-line block ×3, first 2 shown]
	v_pk_fma_f16 v25, 0xba0cbb47, v26, v73 op_sel:[0,0,1] op_sel_hi:[1,1,0] neg_lo:[0,1,0] neg_hi:[0,1,0]
	v_pk_fma_f16 v73, 0xba0cbb47, v26, v73 op_sel:[0,0,1] op_sel_hi:[1,1,0]
	v_add_f16_e32 v12, v2, v22
	v_bfi_b32 v22, 0xffff, v49, v85
	v_pk_fma_f16 v100, 0x3853, v26, v74 op_sel:[0,0,1] op_sel_hi:[0,1,0] neg_lo:[0,1,0] neg_hi:[0,1,0]
	v_pk_fma_f16 v26, 0x3853, v26, v74 op_sel:[0,0,1] op_sel_hi:[0,1,0]
	v_fma_f16 v74, v27, 0xb08e, -v10
	v_fmac_f16_e32 v10, 0xb08e, v27
	v_fma_f16 v101, v27, 0x36a6, -v75
	v_fmac_f16_e32 v75, 0x36a6, v27
	v_fma_f16 v102, v27, 0x3abb, -v76
	v_fmac_f16_e32 v76, 0x3abb, v27
	v_pk_fma_f16 v27, 0x3482bbeb, v28, v77 op_sel:[0,0,1] op_sel_hi:[1,1,0] neg_lo:[0,1,0] neg_hi:[0,1,0]
	v_pk_fma_f16 v77, 0x3482bbeb, v28, v77 op_sel:[0,0,1] op_sel_hi:[1,1,0]
	v_pk_fma_f16 v103, 0xba0c, v28, v78 op_sel:[0,0,1] op_sel_hi:[0,1,0] neg_lo:[0,1,0] neg_hi:[0,1,0]
	v_pk_fma_f16 v28, 0xba0c, v28, v78 op_sel:[0,0,1] op_sel_hi:[0,1,0]
	v_fma_f16 v78, v29, 0xb93d, -v79
	v_fmac_f16_e32 v79, 0xb93d, v29
	v_fma_f16 v104, v29, 0x3abb, -v7
	v_fmac_f16_e32 v7, 0x3abb, v29
	v_fma_f16 v105, v29, 0xbbad, -v80
	v_fmac_f16_e32 v80, 0xbbad, v29
	v_pk_fma_f16 v29, 0x3bebba0c, v30, v81 op_sel:[0,0,1] op_sel_hi:[1,1,0] neg_lo:[0,1,0] neg_hi:[0,1,0]
	v_pk_fma_f16 v81, 0x3bebba0c, v30, v81 op_sel:[0,0,1] op_sel_hi:[1,1,0]
	;; [unrolled: 10-line block ×3, first 2 shown]
	v_pk_fma_f16 v109, 0xbbeb, v48, v84 op_sel:[0,0,1] op_sel_hi:[0,1,0] neg_lo:[0,1,0] neg_hi:[0,1,0]
	v_pk_fma_f16 v48, 0xbbeb, v48, v84 op_sel:[0,0,1] op_sel_hi:[0,1,0]
	v_add_f16_sdwa v84, v2, v86 dst_sel:DWORD dst_unused:UNUSED_PAD src0_sel:WORD_1 src1_sel:DWORD
	v_add_f16_sdwa v51, v2, v51 dst_sel:DWORD dst_unused:UNUSED_PAD src0_sel:WORD_1 src1_sel:DWORD
	v_add_f16_e32 v86, v2, v87
	v_add_f16_sdwa v87, v2, v88 dst_sel:DWORD dst_unused:UNUSED_PAD src0_sel:WORD_1 src1_sel:DWORD
	v_add_f16_e32 v88, v2, v89
	v_add_f16_e32 v54, v2, v54
	v_add_f16_sdwa v85, v2, v85 dst_sel:DWORD dst_unused:UNUSED_PAD src0_sel:WORD_1 src1_sel:DWORD
	v_alignbit_b32 v89, s0, v55, 16
	v_add_f16_sdwa v49, v2, v49 dst_sel:DWORD dst_unused:UNUSED_PAD src0_sel:DWORD src1_sel:WORD_1
	v_add_f16_e32 v52, v2, v52
	v_add_f16_sdwa v53, v2, v53 dst_sel:DWORD dst_unused:UNUSED_PAD src0_sel:WORD_1 src1_sel:DWORD
	v_add_f16_sdwa v23, v2, v23 dst_sel:DWORD dst_unused:UNUSED_PAD src0_sel:WORD_1 src1_sel:DWORD
	;; [unrolled: 1-line block ×3, first 2 shown]
	v_pk_add_f16 v4, v4, v13
	v_add_f16_e32 v5, v2, v5
	v_pk_add_f16 v24, v24, v55
	v_bfi_b32 v55, 0xffff, v73, v25
	v_pk_add_f16 v13, v2, v22 op_sel:[1,0] op_sel_hi:[0,1]
	v_pk_add_f16 v3, v2, v3 op_sel:[1,0] op_sel_hi:[0,1]
	v_alignbit_b32 v111, s0, v100, 16
	v_pk_add_f16 v2, v2, v89
	v_add_f16_e32 v12, v17, v12
	v_add_f16_e32 v17, v59, v84
	;; [unrolled: 1-line block ×7, first 2 shown]
	v_add_f16_sdwa v49, v73, v49 dst_sel:DWORD dst_unused:UNUSED_PAD src0_sel:WORD_1 src1_sel:DWORD
	v_add_f16_e32 v18, v18, v52
	v_add_f16_e32 v52, v58, v53
	;; [unrolled: 1-line block ×5, first 2 shown]
	v_pk_add_f16 v4, v4, v14
	v_bfi_b32 v110, 0xffff, v77, v27
	v_add_f16_e32 v5, v72, v5
	v_pk_add_f16 v13, v55, v13
	v_alignbit_b32 v113, s0, v103, 16
	v_pk_add_f16 v3, v26, v3
	v_pk_add_f16 v24, v100, v24
	v_add_f16_e32 v10, v10, v12
	v_add_f16_e32 v12, v60, v17
	;; [unrolled: 1-line block ×7, first 2 shown]
	v_add_f16_sdwa v27, v77, v49 dst_sel:DWORD dst_unused:UNUSED_PAD src0_sel:WORD_1 src1_sel:DWORD
	v_pk_add_f16 v2, v111, v2
	v_add_f16_e32 v18, v75, v18
	v_add_f16_e32 v26, v63, v52
	;; [unrolled: 1-line block ×5, first 2 shown]
	v_pk_add_f16 v4, v4, v15
	v_bfi_b32 v112, 0xffff, v81, v29
	v_add_f16_e32 v5, v74, v5
	v_pk_add_f16 v13, v110, v13
	v_alignbit_b32 v115, s0, v106, 16
	v_pk_add_f16 v3, v28, v3
	v_pk_add_f16 v24, v103, v24
	v_add_f16_e32 v10, v79, v10
	v_add_f16_e32 v12, v64, v12
	;; [unrolled: 1-line block ×6, first 2 shown]
	v_add_f16_sdwa v25, v81, v27 dst_sel:DWORD dst_unused:UNUSED_PAD src0_sel:WORD_1 src1_sel:DWORD
	v_pk_add_f16 v27, v113, v2
	v_add_f16_e32 v14, v66, v14
	v_add_f16_e32 v7, v7, v18
	;; [unrolled: 1-line block ×6, first 2 shown]
	v_pk_add_f16 v0, v4, v0
	v_bfi_b32 v114, 0xffff, v83, v47
	v_add_f16_e32 v5, v78, v5
	v_pk_add_f16 v13, v112, v13
	v_alignbit_b32 v116, s0, v109, 16
	v_pk_add_f16 v29, v30, v3
	v_pk_add_f16 v24, v106, v24
	v_add_f16_e32 v3, v21, v10
	v_add_f16_e32 v4, v68, v12
	;; [unrolled: 1-line block ×5, first 2 shown]
	v_pk_add_f16 v19, v115, v27
	v_add_f16_e32 v21, v70, v14
	v_add_f16_e32 v7, v11, v7
	;; [unrolled: 1-line block ×7, first 2 shown]
	v_add_f16_sdwa v2, v83, v25 dst_sel:DWORD dst_unused:UNUSED_PAD src0_sel:WORD_1 src1_sel:DWORD
	v_pk_add_f16 v0, v0, v1
	v_add_f16_e32 v5, v82, v5
	v_pk_add_f16 v1, v114, v13
	v_pk_add_f16 v20, v48, v29
	;; [unrolled: 1-line block ×3, first 2 shown]
	v_pack_b32_f16 v10, v10, v12
	v_pk_add_f16 v12, v116, v19
	v_lshl_add_u32 v46, v16, 2, v44
	v_pack_b32_f16 v13, v14, v15
	v_pack_b32_f16 v7, v7, v11
	;; [unrolled: 1-line block ×5, first 2 shown]
	v_add_nc_u32_e32 v16, 0x200, v33
	v_pk_add_f16 v0, v0, v6
	v_alignbit_b32 v4, v4, v1, 16
	v_pack_b32_f16 v1, v5, v1
	v_alignbit_b32 v14, v23, v20, 16
	v_pack_b32_f16 v5, v12, v20
	ds_write2_b32 v46, v10, v13 offset0:3 offset1:4
	ds_write2_b32 v46, v11, v7 offset0:7 offset1:8
	;; [unrolled: 1-line block ×3, first 2 shown]
	ds_write_b32 v46, v0
	ds_write2_b32 v46, v1, v4 offset0:1 offset1:2
	ds_write2_b32 v46, v5, v14 offset0:5 offset1:6
	s_waitcnt lgkmcnt(0)
	s_barrier
	buffer_gl0_inv
	ds_read2_b32 v[4:5], v33 offset1:33
	ds_read2_b32 v[0:1], v33 offset0:66 offset1:121
	ds_read2_b32 v[6:7], v16 offset0:114 offset1:147
	;; [unrolled: 1-line block ×3, first 2 shown]
	ds_read_b32 v23, v33 offset:1232
	v_add_co_u32 v19, s6, s0, v45
	v_add_co_ci_u32_e64 v20, null, s1, 0, s6
                                        ; implicit-def: $vgpr24
                                        ; implicit-def: $vgpr25
	s_and_saveexec_b32 s6, vcc_lo
	s_cbranch_execz .LBB0_3
; %bb.2:
	ds_read2_b32 v[2:3], v33 offset0:99 offset1:220
	ds_read_b32 v24, v33 offset:1364
	s_waitcnt lgkmcnt(1)
	v_lshrrev_b32_e32 v21, 16, v2
	v_lshrrev_b32_e32 v22, 16, v3
	s_waitcnt lgkmcnt(0)
	v_lshrrev_b32_e32 v25, 16, v24
.LBB0_3:
	s_or_b32 exec_lo, exec_lo, s6
	v_and_b32_e32 v9, 0xff, v40
	v_add_nc_u16 v10, v40, 33
	v_add_nc_u16 v11, v40, 0x42
	;; [unrolled: 1-line block ×3, first 2 shown]
	s_waitcnt lgkmcnt(3)
	v_lshrrev_b32_e32 v52, 16, v1
	v_mul_lo_u16 v9, 0x75, v9
	v_and_b32_e32 v12, 0xff, v10
	v_and_b32_e32 v17, 0xff, v11
	;; [unrolled: 1-line block ×3, first 2 shown]
	s_waitcnt lgkmcnt(2)
	v_lshrrev_b32_e32 v53, 16, v6
	v_lshrrev_b16 v9, 8, v9
	v_mul_lo_u16 v12, 0x75, v12
	v_mul_lo_u16 v17, 0x75, v17
	;; [unrolled: 1-line block ×3, first 2 shown]
	s_waitcnt lgkmcnt(1)
	v_lshrrev_b32_e32 v56, 16, v13
	v_sub_nc_u16 v15, v40, v9
	v_lshrrev_b16 v12, 8, v12
	v_lshrrev_b16 v17, 8, v17
	v_lshrrev_b32_e32 v58, 16, v14
	s_waitcnt lgkmcnt(0)
	v_lshrrev_b32_e32 v59, 16, v23
	v_lshrrev_b16 v15, 1, v15
	v_sub_nc_u16 v26, v10, v12
	v_lshrrev_b32_e32 v54, 16, v4
	v_lshrrev_b32_e32 v55, 16, v5
	;; [unrolled: 1-line block ×3, first 2 shown]
	v_and_b32_e32 v15, 0x7f, v15
	v_lshrrev_b16 v26, 1, v26
	v_add_nc_u16 v9, v15, v9
	v_lshrrev_b16 v15, 8, v18
	v_sub_nc_u16 v18, v11, v17
	v_and_b32_e32 v26, 0x7f, v26
	v_lshrrev_b16 v27, 3, v9
	v_sub_nc_u16 v9, v16, v15
	v_lshrrev_b16 v18, 1, v18
	v_add_nc_u16 v12, v26, v12
	v_mov_b32_e32 v26, 3
	v_mul_lo_u16 v28, v27, 11
	v_lshrrev_b16 v9, 1, v9
	v_and_b32_e32 v18, 0x7f, v18
	v_lshrrev_b16 v29, 3, v12
	v_sub_nc_u16 v28, v40, v28
	v_and_b32_e32 v9, 0x7f, v9
	v_add_nc_u16 v17, v18, v17
	v_lshlrev_b16 v12, 1, v28
	v_add_nc_u16 v9, v9, v15
	v_lshrrev_b16 v30, 3, v17
	v_mul_lo_u16 v15, v29, 11
	v_mad_u16 v27, v27, 33, v28
	v_and_b32_e32 v12, 0xfe, v12
	v_lshrrev_b16 v48, 3, v9
	v_mul_lo_u16 v9, v30, 11
	v_sub_nc_u16 v49, v10, v15
	v_and_b32_e32 v27, 0xff, v27
	v_lshlrev_b32_e32 v10, 2, v12
	v_mul_lo_u16 v12, v48, 11
	v_sub_nc_u16 v50, v11, v9
	v_lshlrev_b32_sdwa v9, v26, v49 dst_sel:DWORD dst_unused:UNUSED_PAD src0_sel:DWORD src1_sel:BYTE_0
	v_lshl_add_u32 v51, v27, 2, v44
	global_load_dwordx2 v[17:18], v10, s[2:3]
	v_sub_nc_u16 v47, v16, v12
	global_load_dwordx2 v[15:16], v9, s[2:3]
	v_lshlrev_b32_sdwa v10, v26, v50 dst_sel:DWORD dst_unused:UNUSED_PAD src0_sel:DWORD src1_sel:BYTE_0
	v_lshlrev_b32_sdwa v9, v26, v47 dst_sel:DWORD dst_unused:UNUSED_PAD src0_sel:DWORD src1_sel:BYTE_0
	v_mov_b32_e32 v26, 33
	s_clause 0x1
	global_load_dwordx2 v[11:12], v10, s[2:3]
	global_load_dwordx2 v[9:10], v9, s[2:3]
	s_waitcnt vmcnt(0)
	v_mul_u32_u24_sdwa v28, v29, v26 dst_sel:DWORD dst_unused:UNUSED_PAD src0_sel:WORD_0 src1_sel:DWORD
	v_mul_u32_u24_sdwa v29, v30, v26 dst_sel:DWORD dst_unused:UNUSED_PAD src0_sel:WORD_0 src1_sel:DWORD
	v_lshrrev_b32_e32 v30, 16, v7
	s_barrier
	buffer_gl0_inv
	v_add_nc_u32_sdwa v28, v28, v49 dst_sel:DWORD dst_unused:UNUSED_PAD src0_sel:DWORD src1_sel:BYTE_0
	v_add_nc_u32_sdwa v29, v29, v50 dst_sel:DWORD dst_unused:UNUSED_PAD src0_sel:DWORD src1_sel:BYTE_0
	v_lshl_add_u32 v50, v28, 2, v44
	v_lshl_add_u32 v49, v29, 2, v44
	v_mul_f16_sdwa v29, v52, v17 dst_sel:DWORD dst_unused:UNUSED_PAD src0_sel:DWORD src1_sel:WORD_1
	v_mul_f16_sdwa v60, v1, v17 dst_sel:DWORD dst_unused:UNUSED_PAD src0_sel:DWORD src1_sel:WORD_1
	;; [unrolled: 1-line block ×8, first 2 shown]
	v_fma_f16 v29, v1, v17, -v29
	v_mul_f16_sdwa v67, v58, v11 dst_sel:DWORD dst_unused:UNUSED_PAD src0_sel:DWORD src1_sel:WORD_1
	v_mul_f16_sdwa v68, v14, v11 dst_sel:DWORD dst_unused:UNUSED_PAD src0_sel:DWORD src1_sel:WORD_1
	;; [unrolled: 1-line block ×8, first 2 shown]
	v_fmac_f16_e32 v60, v52, v17
	v_fma_f16 v52, v6, v18, -v61
	v_fmac_f16_e32 v62, v53, v18
	v_fma_f16 v6, v13, v15, -v63
	;; [unrolled: 2-line block ×7, first 2 shown]
	v_fmac_f16_e32 v27, v25, v10
	v_add_f16_e32 v23, v29, v52
	v_add_f16_e32 v30, v60, v62
	v_sub_f16_e32 v24, v60, v62
	v_add_f16_e32 v25, v54, v60
	v_add_f16_e32 v56, v6, v13
	;; [unrolled: 1-line block ×3, first 2 shown]
	v_sub_f16_e32 v58, v64, v66
	v_add_f16_e32 v59, v55, v64
	v_add_f16_e32 v64, v7, v14
	v_sub_f16_e32 v65, v68, v70
	v_add_f16_e32 v67, v57, v68
	v_add_f16_e32 v68, v68, v70
	;; [unrolled: 1-line block ×3, first 2 shown]
	v_sub_f16_e32 v29, v29, v52
	v_add_f16_e32 v53, v5, v6
	v_add_f16_e32 v71, v3, v1
	;; [unrolled: 1-line block ×3, first 2 shown]
	v_fma_f16 v23, -0.5, v23, v4
	v_fmac_f16_e32 v54, -0.5, v30
	v_sub_f16_e32 v61, v6, v13
	v_fmac_f16_e32 v5, -0.5, v56
	v_fmac_f16_e32 v55, -0.5, v60
	v_add_f16_e32 v63, v0, v7
	v_sub_f16_e32 v69, v7, v14
	v_fmac_f16_e32 v0, -0.5, v64
	v_fmac_f16_e32 v57, -0.5, v68
	v_sub_f16_e32 v6, v28, v27
	v_sub_f16_e32 v7, v3, v1
	v_add_f16_e32 v22, v22, v52
	v_add_f16_e32 v25, v25, v62
	;; [unrolled: 1-line block ×3, first 2 shown]
	v_fma_f16 v4, -0.5, v71, v2
	v_fma_f16 v13, -0.5, v72, v21
	v_fmamk_f16 v60, v24, 0x3aee, v23
	v_fmac_f16_e32 v23, 0xbaee, v24
	v_fmamk_f16 v24, v29, 0xbaee, v54
	v_fmac_f16_e32 v54, 0x3aee, v29
	v_add_f16_e32 v56, v59, v66
	v_fmamk_f16 v29, v58, 0x3aee, v5
	v_fmac_f16_e32 v5, 0xbaee, v58
	v_fmamk_f16 v58, v61, 0xbaee, v55
	v_fmac_f16_e32 v55, 0x3aee, v61
	v_add_f16_e32 v14, v63, v14
	v_add_f16_e32 v59, v67, v70
	v_fmamk_f16 v61, v65, 0x3aee, v0
	v_fmamk_f16 v62, v69, 0xbaee, v57
	v_fmac_f16_e32 v0, 0xbaee, v65
	v_fmac_f16_e32 v57, 0x3aee, v69
	v_fmamk_f16 v52, v6, 0xbaee, v4
	v_fmamk_f16 v53, v7, 0x3aee, v13
	v_pack_b32_f16 v22, v22, v25
	v_pack_b32_f16 v24, v60, v24
	v_pack_b32_f16 v23, v23, v54
	v_pack_b32_f16 v25, v30, v56
	v_pack_b32_f16 v29, v29, v58
	v_pack_b32_f16 v5, v5, v55
	v_pack_b32_f16 v14, v14, v59
	v_pack_b32_f16 v30, v61, v62
	v_pack_b32_f16 v0, v0, v57
	ds_write2_b32 v51, v22, v24 offset1:11
	ds_write_b32 v51, v23 offset:88
	ds_write2_b32 v50, v25, v29 offset1:11
	ds_write_b32 v50, v5 offset:88
	;; [unrolled: 2-line block ×3, first 2 shown]
	s_and_saveexec_b32 s6, vcc_lo
	s_cbranch_execz .LBB0_5
; %bb.4:
	v_mul_f16_e32 v0, 0x3aee, v7
	v_add_f16_e32 v5, v21, v28
	v_mul_u32_u24_sdwa v7, v48, v26 dst_sel:DWORD dst_unused:UNUSED_PAD src0_sel:WORD_0 src1_sel:DWORD
	v_add_f16_e32 v2, v2, v3
	v_mul_f16_e32 v3, 0x3aee, v6
	v_sub_f16_e32 v0, v13, v0
	v_add_f16_e32 v5, v5, v27
	v_add_nc_u32_sdwa v6, v7, v47 dst_sel:DWORD dst_unused:UNUSED_PAD src0_sel:DWORD src1_sel:BYTE_0
	v_add_f16_e32 v1, v2, v1
	v_add_f16_e32 v2, v3, v4
	v_lshl_add_u32 v3, v6, 2, v44
	v_pack_b32_f16 v1, v1, v5
	v_pack_b32_f16 v0, v2, v0
	v_perm_b32 v2, v53, v52, 0x5040100
	ds_write2_b32 v3, v1, v0 offset1:11
	ds_write_b32 v3, v2 offset:88
.LBB0_5:
	s_or_b32 exec_lo, exec_lo, s6
	v_mad_u64_u32 v[13:14], null, v40, 40, s[2:3]
	s_waitcnt lgkmcnt(0)
	s_barrier
	buffer_gl0_inv
	v_add_nc_u32_e32 v54, 0x400, v33
	s_add_u32 s0, s0, 0x5ac
	s_addc_u32 s1, s1, 0
	s_clause 0x2
	global_load_dwordx4 v[4:7], v[13:14], off offset:88
	global_load_dwordx4 v[0:3], v[13:14], off offset:104
	global_load_dwordx2 v[13:14], v[13:14], off offset:120
	ds_read2_b32 v[21:22], v33 offset1:33
	ds_read2_b32 v[29:30], v33 offset0:66 offset1:99
	ds_read2_b32 v[27:28], v33 offset0:132 offset1:165
	;; [unrolled: 1-line block ×3, first 2 shown]
	ds_read_b32 v55, v33 offset:1320
	ds_read2_b32 v[23:24], v54 offset0:8 offset1:41
	s_waitcnt lgkmcnt(5)
	v_lshrrev_b32_e32 v56, 16, v22
	s_waitcnt lgkmcnt(4)
	v_lshrrev_b32_e32 v57, 16, v29
	;; [unrolled: 2-line block ×4, first 2 shown]
	v_lshrrev_b32_e32 v58, 16, v30
	v_lshrrev_b32_e32 v59, 16, v27
	;; [unrolled: 1-line block ×6, first 2 shown]
	s_waitcnt vmcnt(2)
	v_mul_f16_sdwa v66, v56, v4 dst_sel:DWORD dst_unused:UNUSED_PAD src0_sel:DWORD src1_sel:WORD_1
	v_mul_f16_sdwa v67, v22, v4 dst_sel:DWORD dst_unused:UNUSED_PAD src0_sel:DWORD src1_sel:WORD_1
	;; [unrolled: 1-line block ×4, first 2 shown]
	s_waitcnt vmcnt(0)
	v_mul_f16_sdwa v82, v65, v13 dst_sel:DWORD dst_unused:UNUSED_PAD src0_sel:DWORD src1_sel:WORD_1
	v_mul_f16_sdwa v84, v63, v14 dst_sel:DWORD dst_unused:UNUSED_PAD src0_sel:DWORD src1_sel:WORD_1
	;; [unrolled: 1-line block ×3, first 2 shown]
	v_fma_f16 v22, v22, v4, -v66
	v_fmac_f16_e32 v67, v56, v4
	v_mul_f16_sdwa v70, v58, v6 dst_sel:DWORD dst_unused:UNUSED_PAD src0_sel:DWORD src1_sel:WORD_1
	v_mul_f16_sdwa v71, v30, v6 dst_sel:DWORD dst_unused:UNUSED_PAD src0_sel:DWORD src1_sel:WORD_1
	;; [unrolled: 1-line block ×13, first 2 shown]
	v_fma_f16 v29, v29, v5, -v68
	v_fmac_f16_e32 v69, v57, v5
	v_fma_f16 v24, v24, v13, -v82
	v_fma_f16 v55, v55, v14, -v84
	v_fmac_f16_e32 v85, v63, v14
	v_add_f16_e32 v56, v21, v22
	v_add_f16_sdwa v57, v21, v67 dst_sel:DWORD dst_unused:UNUSED_PAD src0_sel:WORD_1 src1_sel:DWORD
	v_fma_f16 v30, v30, v6, -v70
	v_fmac_f16_e32 v71, v58, v6
	v_fma_f16 v27, v27, v7, -v72
	v_fmac_f16_e32 v73, v59, v7
	;; [unrolled: 2-line block ×6, first 2 shown]
	v_fmac_f16_e32 v83, v65, v13
	v_add_f16_e32 v58, v22, v55
	v_sub_f16_e32 v22, v22, v55
	v_sub_f16_e32 v60, v67, v85
	v_add_f16_e32 v61, v29, v24
	v_sub_f16_e32 v63, v29, v24
	v_add_f16_e32 v29, v56, v29
	v_add_f16_e32 v56, v57, v69
	;; [unrolled: 1-line block ×4, first 2 shown]
	v_sub_f16_e32 v64, v69, v83
	v_add_f16_e32 v65, v30, v23
	v_sub_f16_e32 v67, v30, v23
	v_sub_f16_e32 v68, v71, v81
	;; [unrolled: 1-line block ×6, first 2 shown]
	v_mul_f16_e32 v57, 0xb853, v60
	v_mul_f16_e32 v69, 0xb853, v22
	;; [unrolled: 1-line block ×10, first 2 shown]
	v_add_f16_e32 v29, v29, v30
	v_add_f16_e32 v30, v56, v71
	;; [unrolled: 1-line block ×7, first 2 shown]
	v_mul_f16_e32 v92, 0xbb47, v64
	v_mul_f16_e32 v93, 0xbb47, v63
	;; [unrolled: 1-line block ×40, first 2 shown]
	v_fma_f16 v56, v58, 0x3abb, -v57
	v_fmamk_f16 v71, v59, 0x3abb, v69
	v_fmac_f16_e32 v57, 0x3abb, v58
	v_fma_f16 v69, v59, 0x3abb, -v69
	v_fma_f16 v124, v58, 0x36a6, -v86
	v_fmamk_f16 v125, v59, 0x36a6, v87
	v_fmac_f16_e32 v86, 0x36a6, v58
	v_fma_f16 v87, v59, 0x36a6, -v87
	;; [unrolled: 4-line block ×5, first 2 shown]
	v_add_f16_e32 v27, v29, v27
	v_add_f16_e32 v29, v30, v73
	v_fma_f16 v58, v61, 0x36a6, -v92
	v_fmamk_f16 v59, v62, 0x36a6, v93
	v_fmac_f16_e32 v92, 0x36a6, v61
	v_fma_f16 v93, v62, 0x36a6, -v93
	v_fma_f16 v132, v61, 0xb93d, -v94
	v_fmamk_f16 v133, v62, 0xb93d, v95
	v_fmac_f16_e32 v94, 0xb93d, v61
	v_fma_f16 v95, v62, 0xb93d, -v95
	;; [unrolled: 4-line block ×10, first 2 shown]
	v_fma_f16 v66, v70, 0xb93d, -v108
	v_fmac_f16_e32 v108, 0xb93d, v70
	v_fma_f16 v67, v70, 0xb08e, -v110
	v_fmac_f16_e32 v110, 0xb08e, v70
	;; [unrolled: 2-line block ×5, first 2 shown]
	v_fmamk_f16 v70, v76, 0xb93d, v109
	v_fma_f16 v109, v76, 0xb93d, -v109
	v_fmamk_f16 v151, v76, 0xb08e, v111
	v_fma_f16 v111, v76, 0xb08e, -v111
	;; [unrolled: 2-line block ×5, first 2 shown]
	v_fma_f16 v76, v80, 0xbbad, -v116
	v_fmac_f16_e32 v116, 0xbbad, v80
	v_fma_f16 v155, v80, 0x3abb, -v117
	v_fmac_f16_e32 v117, 0x3abb, v80
	;; [unrolled: 2-line block ×5, first 2 shown]
	v_fmamk_f16 v80, v84, 0xbbad, v120
	v_fma_f16 v120, v84, 0xbbad, -v120
	v_fmamk_f16 v159, v84, 0x3abb, v121
	v_fma_f16 v121, v84, 0x3abb, -v121
	;; [unrolled: 2-line block ×5, first 2 shown]
	v_add_f16_e32 v56, v21, v56
	v_add_f16_sdwa v71, v21, v71 dst_sel:DWORD dst_unused:UNUSED_PAD src0_sel:WORD_1 src1_sel:DWORD
	v_add_f16_e32 v57, v21, v57
	v_add_f16_sdwa v69, v21, v69 dst_sel:DWORD dst_unused:UNUSED_PAD src0_sel:WORD_1 src1_sel:DWORD
	;; [unrolled: 2-line block ×10, first 2 shown]
	v_add_f16_e32 v22, v27, v28
	v_add_f16_e32 v27, v29, v75
	;; [unrolled: 1-line block ×92, first 2 shown]
	v_pack_b32_f16 v24, v25, v26
	v_pack_b32_f16 v22, v22, v23
	;; [unrolled: 1-line block ×11, first 2 shown]
	ds_write2_b32 v33, v22, v24 offset1:33
	ds_write2_b32 v33, v25, v26 offset0:66 offset1:99
	ds_write2_b32 v33, v29, v30 offset0:132 offset1:165
	;; [unrolled: 1-line block ×4, first 2 shown]
	ds_write_b32 v33, v27 offset:1320
	s_waitcnt lgkmcnt(0)
	s_barrier
	buffer_gl0_inv
	s_clause 0xa
	global_load_dword v29, v[19:20], off offset:1452
	global_load_dword v30, v45, s[0:1] offset:132
	global_load_dword v55, v45, s[0:1] offset:264
	global_load_dword v56, v45, s[0:1] offset:396
	global_load_dword v57, v45, s[0:1] offset:528
	global_load_dword v58, v45, s[0:1] offset:660
	global_load_dword v59, v45, s[0:1] offset:792
	global_load_dword v60, v45, s[0:1] offset:924
	global_load_dword v61, v45, s[0:1] offset:1056
	global_load_dword v62, v45, s[0:1] offset:1188
	global_load_dword v45, v45, s[0:1] offset:1320
	ds_read2_b32 v[19:20], v33 offset1:33
	ds_read2_b32 v[21:22], v33 offset0:66 offset1:99
	ds_read2_b32 v[23:24], v33 offset0:132 offset1:165
	;; [unrolled: 1-line block ×4, first 2 shown]
	ds_read_b32 v63, v33 offset:1320
	v_mov_b32_e32 v64, 0xbb47
	v_mov_b32_e32 v65, 0x36a6
	;; [unrolled: 1-line block ×4, first 2 shown]
	s_waitcnt lgkmcnt(5)
	v_lshrrev_b32_e32 v68, 16, v19
	v_lshrrev_b32_e32 v69, 16, v20
	s_waitcnt lgkmcnt(4)
	v_lshrrev_b32_e32 v70, 16, v21
	v_lshrrev_b32_e32 v71, 16, v22
	;; [unrolled: 3-line block ×5, first 2 shown]
	s_waitcnt lgkmcnt(0)
	v_lshrrev_b32_e32 v78, 16, v63
	s_waitcnt vmcnt(10)
	v_mul_f16_sdwa v79, v68, v29 dst_sel:DWORD dst_unused:UNUSED_PAD src0_sel:DWORD src1_sel:WORD_1
	v_mul_f16_sdwa v80, v19, v29 dst_sel:DWORD dst_unused:UNUSED_PAD src0_sel:DWORD src1_sel:WORD_1
	s_waitcnt vmcnt(9)
	v_mul_f16_sdwa v81, v69, v30 dst_sel:DWORD dst_unused:UNUSED_PAD src0_sel:DWORD src1_sel:WORD_1
	v_mul_f16_sdwa v82, v20, v30 dst_sel:DWORD dst_unused:UNUSED_PAD src0_sel:DWORD src1_sel:WORD_1
	;; [unrolled: 3-line block ×11, first 2 shown]
	v_fma_f16 v19, v19, v29, -v79
	v_fmac_f16_e32 v80, v68, v29
	v_fma_f16 v20, v20, v30, -v81
	v_fmac_f16_e32 v82, v69, v30
	;; [unrolled: 2-line block ×11, first 2 shown]
	v_pack_b32_f16 v19, v19, v80
	v_pack_b32_f16 v20, v20, v82
	;; [unrolled: 1-line block ×11, first 2 shown]
	ds_write2_b32 v33, v19, v20 offset1:33
	ds_write2_b32 v33, v21, v22 offset0:66 offset1:99
	ds_write2_b32 v33, v23, v24 offset0:132 offset1:165
	;; [unrolled: 1-line block ×4, first 2 shown]
	ds_write_b32 v33, v29 offset:1320
	s_waitcnt lgkmcnt(0)
	s_barrier
	buffer_gl0_inv
	ds_read2_b32 v[19:20], v33 offset1:33
	ds_read_b32 v21, v33 offset:1320
	ds_read2_b32 v[22:23], v33 offset0:66 offset1:99
	ds_read2_b32 v[24:25], v54 offset0:8 offset1:41
	;; [unrolled: 1-line block ×4, first 2 shown]
	v_mov_b32_e32 v30, 0xba0c
	v_mov_b32_e32 v54, 0x3482
	;; [unrolled: 1-line block ×10, first 2 shown]
	v_add_nc_u32_e32 v62, 0x200, v33
	s_waitcnt lgkmcnt(0)
	s_barrier
	buffer_gl0_inv
	v_pk_add_f16 v63, v19, v20
	v_pk_add_f16 v68, v21, v20
	v_pk_add_f16 v20, v20, v21 neg_lo:[0,1] neg_hi:[0,1]
	v_pk_add_f16 v70, v22, v25 neg_lo:[0,1] neg_hi:[0,1]
	;; [unrolled: 1-line block ×5, first 2 shown]
	v_pk_add_f16 v69, v25, v22
	v_pk_add_f16 v22, v63, v22
	;; [unrolled: 1-line block ×5, first 2 shown]
	v_pk_mul_f16 v63, 0xb853, v20 op_sel_hi:[0,1]
	v_mul_f16_sdwa v64, v20, v64 dst_sel:DWORD dst_unused:UNUSED_PAD src0_sel:WORD_1 src1_sel:DWORD
	v_mul_f16_sdwa v78, v68, v65 dst_sel:DWORD dst_unused:UNUSED_PAD src0_sel:WORD_1 src1_sel:DWORD
	;; [unrolled: 1-line block ×5, first 2 shown]
	v_pk_mul_f16 v82, 0xbb47, v70 op_sel_hi:[0,1]
	v_mul_f16_sdwa v83, v70, v30 dst_sel:DWORD dst_unused:UNUSED_PAD src0_sel:WORD_1 src1_sel:DWORD
	v_mul_f16_sdwa v85, v70, v54 dst_sel:DWORD dst_unused:UNUSED_PAD src0_sel:WORD_1 src1_sel:DWORD
	v_mul_f16_sdwa v87, v70, v56 dst_sel:DWORD dst_unused:UNUSED_PAD src0_sel:WORD_1 src1_sel:DWORD
	v_pk_mul_f16 v89, 0xbbeb, v72 op_sel_hi:[0,1]
	v_mul_f16_sdwa v54, v72, v54 dst_sel:DWORD dst_unused:UNUSED_PAD src0_sel:WORD_1 src1_sel:DWORD
	v_mul_f16_sdwa v91, v72, v57 dst_sel:DWORD dst_unused:UNUSED_PAD src0_sel:WORD_1 src1_sel:DWORD
	v_mul_f16_sdwa v93, v72, v58 dst_sel:DWORD dst_unused:UNUSED_PAD src0_sel:WORD_1 src1_sel:DWORD
	;; [unrolled: 4-line block ×4, first 2 shown]
	v_pk_mul_f16 v98, 0xbbad, v68 op_sel_hi:[0,1]
	v_mul_f16_sdwa v81, v68, v45 dst_sel:DWORD dst_unused:UNUSED_PAD src0_sel:WORD_1 src1_sel:DWORD
	v_pk_add_f16 v22, v22, v23
	v_alignbit_b32 v77, s0, v19, 16
	v_mul_f16_sdwa v84, v69, v45 dst_sel:DWORD dst_unused:UNUSED_PAD src0_sel:WORD_1 src1_sel:DWORD
	v_mul_f16_sdwa v86, v69, v55 dst_sel:DWORD dst_unused:UNUSED_PAD src0_sel:WORD_1 src1_sel:DWORD
	;; [unrolled: 1-line block ×12, first 2 shown]
	v_pk_mul_f16 v99, 0x3abb, v69 op_sel_hi:[0,1]
	v_pk_mul_f16 v100, 0xb93d, v71 op_sel_hi:[0,1]
	;; [unrolled: 1-line block ×4, first 2 shown]
	v_pk_fma_f16 v23, 0x3abb, v68, v63 op_sel:[0,0,1] op_sel_hi:[0,1,0]
	v_pk_fma_f16 v63, 0x3abb, v68, v63 op_sel:[0,0,1] op_sel_hi:[0,1,0] neg_lo:[0,0,1] neg_hi:[0,0,1]
	v_fmamk_f16 v103, v68, 0x36a6, v64
	v_fmamk_f16 v104, v20, 0x3b47, v78
	v_fma_f16 v64, v68, 0x36a6, -v64
	v_fmac_f16_e32 v78, 0xbb47, v20
	v_fmamk_f16 v105, v68, 0xb08e, v66
	v_fmamk_f16 v106, v20, 0x3beb, v79
	v_fma_f16 v66, v68, 0xb08e, -v66
	v_fmamk_f16 v107, v68, 0xb93d, v80
	v_fma_f16 v68, v68, 0xb93d, -v80
	v_pk_fma_f16 v80, 0x36a6, v69, v82 op_sel:[0,0,1] op_sel_hi:[0,1,0]
	v_pk_fma_f16 v82, 0x36a6, v69, v82 op_sel:[0,0,1] op_sel_hi:[0,1,0] neg_lo:[0,0,1] neg_hi:[0,0,1]
	v_fmamk_f16 v109, v69, 0xb93d, v83
	v_fma_f16 v83, v69, 0xb93d, -v83
	v_fmamk_f16 v111, v69, 0xbbad, v85
	v_fma_f16 v85, v69, 0xbbad, -v85
	v_fmamk_f16 v113, v69, 0xb08e, v87
	v_fma_f16 v69, v69, 0xb08e, -v87
	v_pk_fma_f16 v87, 0xb08e, v71, v89 op_sel:[0,0,1] op_sel_hi:[0,1,0]
	v_pk_fma_f16 v89, 0xb08e, v71, v89 op_sel:[0,0,1] op_sel_hi:[0,1,0] neg_lo:[0,0,1] neg_hi:[0,0,1]
	v_fmamk_f16 v115, v71, 0xbbad, v54
	v_fma_f16 v54, v71, 0xbbad, -v54
	;; [unrolled: 8-line block ×4, first 2 shown]
	v_fmamk_f16 v129, v75, 0xb93d, v30
	v_fma_f16 v30, v75, 0xb93d, -v30
	v_fmamk_f16 v131, v75, 0x36a6, v57
	v_fma_f16 v57, v75, 0x36a6, -v57
	v_pk_fma_f16 v75, 0xb482, v20, v98 op_sel:[0,0,1] op_sel_hi:[0,1,0]
	v_fmac_f16_e32 v79, 0xbbeb, v20
	v_fmamk_f16 v108, v20, 0x3a0c, v81
	v_fmac_f16_e32 v81, 0xba0c, v20
	v_pk_fma_f16 v20, 0xb482, v20, v98 op_sel:[0,0,1] op_sel_hi:[0,1,0] neg_lo:[0,1,0] neg_hi:[0,1,0]
	v_pk_add_f16 v22, v22, v26
	v_fmamk_f16 v110, v70, 0x3a0c, v84
	v_fmac_f16_e32 v84, 0xba0c, v70
	v_fmamk_f16 v112, v70, 0xb482, v86
	v_fmac_f16_e32 v86, 0x3482, v70
	;; [unrolled: 2-line block ×12, first 2 shown]
	v_pk_fma_f16 v98, 0x3853, v70, v99 op_sel:[0,0,1] op_sel_hi:[0,1,0]
	v_pk_fma_f16 v70, 0x3853, v70, v99 op_sel:[0,0,1] op_sel_hi:[0,1,0] neg_lo:[0,1,0] neg_hi:[0,1,0]
	v_pk_fma_f16 v99, 0xba0c, v72, v100 op_sel:[0,0,1] op_sel_hi:[0,1,0]
	v_pk_fma_f16 v72, 0xba0c, v72, v100 op_sel:[0,0,1] op_sel_hi:[0,1,0] neg_lo:[0,1,0] neg_hi:[0,1,0]
	;; [unrolled: 2-line block ×4, first 2 shown]
	v_bfi_b32 v26, 0xffff, v23, v63
	v_add_f16_e32 v102, v19, v103
	v_add_f16_sdwa v103, v19, v104 dst_sel:DWORD dst_unused:UNUSED_PAD src0_sel:WORD_1 src1_sel:DWORD
	v_add_f16_e32 v64, v19, v64
	v_add_f16_sdwa v78, v19, v78 dst_sel:DWORD dst_unused:UNUSED_PAD src0_sel:WORD_1 src1_sel:DWORD
	;; [unrolled: 2-line block ×3, first 2 shown]
	v_add_f16_e32 v66, v19, v66
	v_pk_add_f16 v77, v77, v75
	v_alignbit_b32 v75, s0, v75, 16
	v_add_f16_sdwa v79, v19, v79 dst_sel:DWORD dst_unused:UNUSED_PAD src0_sel:WORD_1 src1_sel:DWORD
	v_add_f16_e32 v106, v19, v107
	v_add_f16_sdwa v107, v19, v108 dst_sel:DWORD dst_unused:UNUSED_PAD src0_sel:WORD_1 src1_sel:DWORD
	v_add_f16_e32 v68, v19, v68
	v_add_f16_sdwa v81, v19, v81 dst_sel:DWORD dst_unused:UNUSED_PAD src0_sel:WORD_1 src1_sel:DWORD
	v_pk_add_f16 v20, v19, v20 op_sel:[1,0] op_sel_hi:[0,1]
	v_bfi_b32 v23, 0xffff, v63, v23
	v_pk_add_f16 v22, v22, v27
	v_bfi_b32 v108, 0xffff, v80, v82
	v_bfi_b32 v135, 0xffff, v73, v97
	v_alignbit_b32 v63, s0, v98, 16
	v_bfi_b32 v73, 0xffff, v97, v73
	v_pk_add_f16 v26, v19, v26
	v_add_f16_e32 v27, v109, v102
	v_add_f16_e32 v97, v110, v103
	;; [unrolled: 1-line block ×7, first 2 shown]
	v_pk_add_f16 v75, v19, v75
	v_add_f16_e32 v79, v86, v79
	v_add_f16_e32 v85, v113, v106
	;; [unrolled: 1-line block ×5, first 2 shown]
	v_bfi_b32 v80, 0xffff, v82, v80
	v_pk_add_f16 v20, v70, v20
	v_pk_add_f16 v70, v98, v77
	;; [unrolled: 1-line block ×4, first 2 shown]
	v_alignbit_b32 v82, s0, v99, 16
	v_pk_add_f16 v23, v108, v26
	v_add_f16_e32 v26, v115, v27
	v_add_f16_e32 v27, v116, v97
	;; [unrolled: 1-line block ×7, first 2 shown]
	v_pk_add_f16 v63, v63, v75
	v_add_f16_e32 v78, v92, v79
	v_add_f16_e32 v79, v119, v85
	;; [unrolled: 1-line block ×5, first 2 shown]
	v_bfi_b32 v133, 0xffff, v87, v89
	v_bfi_b32 v87, 0xffff, v89, v87
	v_pk_add_f16 v20, v72, v20
	v_pk_add_f16 v70, v99, v70
	;; [unrolled: 1-line block ×4, first 2 shown]
	v_alignbit_b32 v89, s0, v100, 16
	v_add_f16_e32 v26, v121, v26
	v_add_f16_e32 v27, v122, v27
	;; [unrolled: 1-line block ×7, first 2 shown]
	v_pk_add_f16 v63, v82, v63
	v_add_f16_e32 v66, v125, v79
	v_add_f16_e32 v67, v126, v81
	;; [unrolled: 1-line block ×5, first 2 shown]
	v_bfi_b32 v134, 0xffff, v93, v95
	v_bfi_b32 v93, 0xffff, v95, v93
	v_pk_add_f16 v20, v74, v20
	v_pk_add_f16 v68, v100, v70
	;; [unrolled: 1-line block ×5, first 2 shown]
	v_alignbit_b32 v95, s0, v101, 16
	v_add_f16_e32 v24, v127, v26
	v_add_f16_e32 v26, v128, v27
	;; [unrolled: 1-line block ×6, first 2 shown]
	v_pk_add_f16 v58, v89, v63
	v_add_f16_e32 v54, v131, v66
	v_add_f16_e32 v56, v132, v67
	;; [unrolled: 1-line block ×6, first 2 shown]
	v_pk_add_f16 v59, v76, v20
	v_pk_add_f16 v20, v101, v68
	;; [unrolled: 1-line block ×5, first 2 shown]
	v_pack_b32_f16 v25, v27, v28
	v_pk_add_f16 v27, v95, v58
	v_pack_b32_f16 v24, v24, v26
	v_pack_b32_f16 v26, v54, v56
	;; [unrolled: 1-line block ×4, first 2 shown]
	v_alignbit_b32 v28, v20, v59, 16
	v_pk_add_f16 v20, v73, v60
	v_pack_b32_f16 v54, v19, v29
	v_pk_add_f16 v23, v135, v23
	v_pk_add_f16 v21, v22, v21
	v_pack_b32_f16 v22, v27, v59
	ds_write2_b32 v46, v24, v25 offset0:2 offset1:3
	ds_write_b32 v46, v26 offset:16
	ds_write2_b32 v46, v45, v30 offset0:7 offset1:8
	ds_write2_b32 v46, v54, v20 offset0:9 offset1:10
	ds_write2_b32 v46, v21, v23 offset1:1
	ds_write2_b32 v46, v22, v28 offset0:5 offset1:6
	s_waitcnt lgkmcnt(0)
	s_barrier
	buffer_gl0_inv
	ds_read2_b32 v[23:24], v33 offset1:33
	ds_read2_b32 v[21:22], v33 offset0:66 offset1:121
	ds_read2_b32 v[27:28], v62 offset0:114 offset1:147
	;; [unrolled: 1-line block ×3, first 2 shown]
	ds_read_b32 v45, v33 offset:1232
	v_lshrrev_b32_e32 v30, 16, v20
	s_and_saveexec_b32 s0, vcc_lo
	s_cbranch_execz .LBB0_7
; %bb.6:
	ds_read2_b32 v[19:20], v33 offset0:99 offset1:220
	ds_read_b32 v52, v33 offset:1364
	s_waitcnt lgkmcnt(1)
	v_lshrrev_b32_e32 v29, 16, v19
	v_lshrrev_b32_e32 v30, 16, v20
	s_waitcnt lgkmcnt(0)
	v_lshrrev_b32_e32 v53, 16, v52
.LBB0_7:
	s_or_b32 exec_lo, exec_lo, s0
	s_waitcnt lgkmcnt(3)
	v_lshrrev_b32_e32 v54, 16, v22
	s_waitcnt lgkmcnt(2)
	v_lshrrev_b32_e32 v55, 16, v27
	;; [unrolled: 2-line block ×3, first 2 shown]
	v_mul_f16_sdwa v62, v17, v22 dst_sel:DWORD dst_unused:UNUSED_PAD src0_sel:WORD_1 src1_sel:DWORD
	v_lshrrev_b32_e32 v58, 16, v28
	v_mul_f16_sdwa v60, v17, v54 dst_sel:DWORD dst_unused:UNUSED_PAD src0_sel:WORD_1 src1_sel:DWORD
	v_mul_f16_sdwa v64, v18, v55 dst_sel:DWORD dst_unused:UNUSED_PAD src0_sel:WORD_1 src1_sel:DWORD
	v_lshrrev_b32_e32 v61, 16, v26
	s_waitcnt lgkmcnt(0)
	v_lshrrev_b32_e32 v63, 16, v45
	v_lshrrev_b32_e32 v46, 16, v23
	v_fmac_f16_e32 v60, v17, v22
	v_mul_f16_sdwa v22, v18, v27 dst_sel:DWORD dst_unused:UNUSED_PAD src0_sel:WORD_1 src1_sel:DWORD
	v_fma_f16 v17, v17, v54, -v62
	v_mul_f16_sdwa v54, v15, v57 dst_sel:DWORD dst_unused:UNUSED_PAD src0_sel:WORD_1 src1_sel:DWORD
	v_fmac_f16_e32 v64, v18, v27
	v_mul_f16_sdwa v27, v15, v25 dst_sel:DWORD dst_unused:UNUSED_PAD src0_sel:WORD_1 src1_sel:DWORD
	v_fma_f16 v18, v18, v55, -v22
	v_mul_f16_sdwa v22, v16, v58 dst_sel:DWORD dst_unused:UNUSED_PAD src0_sel:WORD_1 src1_sel:DWORD
	;; [unrolled: 4-line block ×4, first 2 shown]
	v_fmac_f16_e32 v27, v11, v26
	v_mul_f16_sdwa v26, v12, v45 dst_sel:DWORD dst_unused:UNUSED_PAD src0_sel:WORD_1 src1_sel:DWORD
	v_fma_f16 v11, v11, v61, -v28
	v_add_f16_e32 v28, v60, v64
	v_fmac_f16_e32 v25, v12, v45
	v_add_f16_e32 v45, v23, v60
	v_fma_f16 v12, v12, v63, -v26
	v_add_f16_e32 v26, v17, v18
	v_fma_f16 v23, -0.5, v28, v23
	v_sub_f16_e32 v28, v17, v18
	v_add_f16_e32 v17, v46, v17
	v_lshrrev_b32_e32 v56, 16, v24
	v_fmac_f16_e32 v46, -0.5, v26
	v_sub_f16_e32 v26, v60, v64
	v_fmamk_f16 v55, v28, 0xbaee, v23
	v_add_f16_e32 v17, v17, v18
	v_add_f16_e32 v18, v54, v22
	v_fmac_f16_e32 v23, 0x3aee, v28
	v_fmamk_f16 v28, v26, 0x3aee, v46
	v_add_f16_e32 v57, v24, v54
	v_fmac_f16_e32 v46, 0xbaee, v26
	v_add_f16_e32 v26, v15, v16
	v_fmac_f16_e32 v24, -0.5, v18
	v_sub_f16_e32 v18, v15, v16
	v_add_f16_e32 v15, v56, v15
	v_add_f16_e32 v57, v57, v22
	v_fmac_f16_e32 v56, -0.5, v26
	v_sub_f16_e32 v22, v54, v22
	v_lshrrev_b32_e32 v59, 16, v21
	v_add_f16_e32 v15, v15, v16
	v_add_f16_e32 v16, v27, v25
	v_fmamk_f16 v26, v18, 0xbaee, v24
	v_fmac_f16_e32 v24, 0x3aee, v18
	v_fmamk_f16 v18, v22, 0x3aee, v56
	v_fmac_f16_e32 v56, 0xbaee, v22
	v_add_f16_e32 v22, v11, v12
	v_add_f16_e32 v45, v45, v64
	;; [unrolled: 1-line block ×3, first 2 shown]
	v_fmac_f16_e32 v21, -0.5, v16
	v_sub_f16_e32 v16, v11, v12
	v_add_f16_e32 v11, v59, v11
	v_fmac_f16_e32 v59, -0.5, v22
	v_sub_f16_e32 v22, v27, v25
	v_add_f16_e32 v25, v54, v25
	v_fmamk_f16 v27, v16, 0xbaee, v21
	v_fmac_f16_e32 v21, 0x3aee, v16
	v_pack_b32_f16 v16, v45, v17
	v_pack_b32_f16 v17, v55, v28
	v_add_f16_e32 v11, v11, v12
	v_fmamk_f16 v12, v22, 0x3aee, v59
	v_fmac_f16_e32 v59, 0xbaee, v22
	s_barrier
	buffer_gl0_inv
	ds_write2_b32 v51, v16, v17 offset1:11
	v_pack_b32_f16 v16, v23, v46
	v_pack_b32_f16 v15, v57, v15
	;; [unrolled: 1-line block ×7, first 2 shown]
	ds_write_b32 v51, v16 offset:88
	ds_write2_b32 v50, v15, v17 offset1:11
	ds_write_b32 v50, v18 offset:88
	ds_write2_b32 v49, v11, v12 offset1:11
	ds_write_b32 v49, v21 offset:88
	s_and_saveexec_b32 s0, vcc_lo
	s_cbranch_execz .LBB0_9
; %bb.8:
	v_mul_f16_sdwa v11, v9, v20 dst_sel:DWORD dst_unused:UNUSED_PAD src0_sel:WORD_1 src1_sel:DWORD
	v_mul_f16_sdwa v12, v10, v52 dst_sel:DWORD dst_unused:UNUSED_PAD src0_sel:WORD_1 src1_sel:DWORD
	;; [unrolled: 1-line block ×4, first 2 shown]
	v_fma_f16 v11, v9, v30, -v11
	v_fma_f16 v12, v10, v53, -v12
	v_fmac_f16_e32 v15, v9, v20
	v_fmac_f16_e32 v16, v10, v52
	v_mov_b32_e32 v9, 33
	v_add_f16_e32 v20, v29, v11
	v_add_f16_e32 v10, v11, v12
	v_sub_f16_e32 v11, v11, v12
	v_add_f16_e32 v17, v15, v16
	v_mul_u32_u24_sdwa v9, v48, v9 dst_sel:DWORD dst_unused:UNUSED_PAD src0_sel:WORD_0 src1_sel:DWORD
	v_sub_f16_e32 v18, v15, v16
	v_fma_f16 v10, -0.5, v10, v29
	v_add_f16_e32 v15, v19, v15
	v_fma_f16 v17, -0.5, v17, v19
	v_add_f16_e32 v12, v20, v12
	v_add_nc_u32_sdwa v9, v9, v47 dst_sel:DWORD dst_unused:UNUSED_PAD src0_sel:DWORD src1_sel:BYTE_0
	v_fmamk_f16 v19, v18, 0xbaee, v10
	v_fmac_f16_e32 v10, 0x3aee, v18
	v_fmamk_f16 v18, v11, 0x3aee, v17
	v_add_f16_e32 v15, v15, v16
	v_fmac_f16_e32 v17, 0xbaee, v11
	v_lshl_add_u32 v9, v9, 2, v44
	v_pack_b32_f16 v11, v15, v12
	v_pack_b32_f16 v10, v17, v10
	;; [unrolled: 1-line block ×3, first 2 shown]
	ds_write2_b32 v9, v11, v10 offset1:11
	ds_write_b32 v9, v12 offset:88
.LBB0_9:
	s_or_b32 exec_lo, exec_lo, s0
	s_waitcnt lgkmcnt(0)
	s_barrier
	buffer_gl0_inv
	ds_read2_b32 v[10:11], v33 offset1:33
	ds_read2_b32 v[15:16], v33 offset0:66 offset1:99
	ds_read2_b32 v[17:18], v33 offset0:132 offset1:165
	;; [unrolled: 1-line block ×3, first 2 shown]
	v_add_nc_u32_e32 v9, 0x400, v33
	ds_read_b32 v12, v33 offset:1320
	ds_read2_b32 v[21:22], v9 offset0:8 offset1:41
	s_mov_b32 s2, 0x3a88d0c0
	s_mov_b32 s3, 0x3f669147
	s_waitcnt lgkmcnt(5)
	v_lshrrev_b32_e32 v23, 16, v11
	s_waitcnt lgkmcnt(4)
	v_lshrrev_b32_e32 v24, 16, v15
	s_waitcnt lgkmcnt(3)
	v_lshrrev_b32_e32 v26, 16, v17
	v_mul_f16_sdwa v44, v4, v11 dst_sel:DWORD dst_unused:UNUSED_PAD src0_sel:WORD_1 src1_sel:DWORD
	v_lshrrev_b32_e32 v25, 16, v16
	v_mul_f16_sdwa v49, v4, v23 dst_sel:DWORD dst_unused:UNUSED_PAD src0_sel:WORD_1 src1_sel:DWORD
	v_mul_f16_sdwa v45, v5, v15 dst_sel:DWORD dst_unused:UNUSED_PAD src0_sel:WORD_1 src1_sel:DWORD
	;; [unrolled: 1-line block ×3, first 2 shown]
	v_fma_f16 v23, v4, v23, -v44
	v_mul_f16_sdwa v44, v5, v24 dst_sel:DWORD dst_unused:UNUSED_PAD src0_sel:WORD_1 src1_sel:DWORD
	v_fmac_f16_e32 v49, v4, v11
	v_mul_f16_sdwa v4, v7, v17 dst_sel:DWORD dst_unused:UNUSED_PAD src0_sel:WORD_1 src1_sel:DWORD
	v_lshrrev_b32_e32 v27, 16, v18
	v_mul_f16_sdwa v46, v6, v16 dst_sel:DWORD dst_unused:UNUSED_PAD src0_sel:WORD_1 src1_sel:DWORD
	v_fma_f16 v24, v5, v24, -v45
	v_mul_f16_sdwa v45, v6, v25 dst_sel:DWORD dst_unused:UNUSED_PAD src0_sel:WORD_1 src1_sel:DWORD
	v_fmac_f16_e32 v44, v5, v15
	v_fmac_f16_e32 v50, v7, v17
	v_fma_f16 v4, v7, v26, -v4
	v_add_f16_e32 v7, v10, v49
	s_waitcnt lgkmcnt(2)
	v_lshrrev_b32_e32 v28, 16, v19
	v_fmac_f16_e32 v45, v6, v16
	v_fma_f16 v5, v6, v25, -v46
	v_mul_f16_sdwa v6, v0, v27 dst_sel:DWORD dst_unused:UNUSED_PAD src0_sel:WORD_1 src1_sel:DWORD
	v_mul_f16_sdwa v11, v0, v18 dst_sel:DWORD dst_unused:UNUSED_PAD src0_sel:WORD_1 src1_sel:DWORD
	v_add_f16_sdwa v16, v10, v23 dst_sel:DWORD dst_unused:UNUSED_PAD src0_sel:WORD_1 src1_sel:DWORD
	v_add_f16_e32 v7, v7, v44
	v_lshrrev_b32_e32 v29, 16, v20
	v_mul_f16_sdwa v15, v1, v28 dst_sel:DWORD dst_unused:UNUSED_PAD src0_sel:WORD_1 src1_sel:DWORD
	v_fmac_f16_e32 v6, v0, v18
	v_fma_f16 v0, v0, v27, -v11
	v_mul_f16_sdwa v11, v1, v19 dst_sel:DWORD dst_unused:UNUSED_PAD src0_sel:WORD_1 src1_sel:DWORD
	v_add_f16_e32 v16, v16, v24
	v_add_f16_e32 v7, v7, v45
	s_waitcnt lgkmcnt(0)
	v_lshrrev_b32_e32 v47, 16, v21
	v_fmac_f16_e32 v15, v1, v19
	v_mul_f16_sdwa v17, v2, v29 dst_sel:DWORD dst_unused:UNUSED_PAD src0_sel:WORD_1 src1_sel:DWORD
	v_mul_f16_sdwa v18, v2, v20 dst_sel:DWORD dst_unused:UNUSED_PAD src0_sel:WORD_1 src1_sel:DWORD
	v_fma_f16 v1, v1, v28, -v11
	v_add_f16_e32 v11, v16, v5
	v_add_f16_e32 v7, v7, v50
	v_fmac_f16_e32 v17, v2, v20
	v_fma_f16 v2, v2, v29, -v18
	v_mul_f16_sdwa v16, v3, v47 dst_sel:DWORD dst_unused:UNUSED_PAD src0_sel:WORD_1 src1_sel:DWORD
	v_add_f16_e32 v11, v11, v4
	v_add_f16_e32 v7, v7, v6
	v_mul_f16_sdwa v18, v3, v21 dst_sel:DWORD dst_unused:UNUSED_PAD src0_sel:WORD_1 src1_sel:DWORD
	v_lshrrev_b32_e32 v30, 16, v12
	v_lshrrev_b32_e32 v48, 16, v22
	v_fmac_f16_e32 v16, v3, v21
	v_add_f16_e32 v11, v11, v0
	v_add_f16_e32 v7, v7, v15
	v_fma_f16 v3, v3, v47, -v18
	v_mul_f16_sdwa v18, v14, v12 dst_sel:DWORD dst_unused:UNUSED_PAD src0_sel:WORD_1 src1_sel:DWORD
	v_mul_f16_sdwa v19, v13, v48 dst_sel:DWORD dst_unused:UNUSED_PAD src0_sel:WORD_1 src1_sel:DWORD
	v_add_f16_e32 v11, v11, v1
	v_add_f16_e32 v7, v7, v17
	v_mul_f16_sdwa v20, v13, v22 dst_sel:DWORD dst_unused:UNUSED_PAD src0_sel:WORD_1 src1_sel:DWORD
	v_mul_f16_sdwa v21, v14, v30 dst_sel:DWORD dst_unused:UNUSED_PAD src0_sel:WORD_1 src1_sel:DWORD
	v_fma_f16 v18, v14, v30, -v18
	v_fmac_f16_e32 v19, v13, v22
	v_add_f16_e32 v11, v11, v2
	v_add_f16_e32 v7, v7, v16
	v_fma_f16 v13, v13, v48, -v20
	v_fmac_f16_e32 v21, v14, v12
	v_sub_f16_e32 v12, v23, v18
	v_add_f16_e32 v11, v11, v3
	v_add_f16_e32 v7, v7, v19
	;; [unrolled: 1-line block ×4, first 2 shown]
	v_mul_f16_e32 v22, 0xb853, v12
	v_sub_f16_e32 v55, v24, v13
	v_add_f16_e32 v11, v11, v13
	v_sub_f16_e32 v23, v49, v21
	v_mul_f16_e32 v25, 0x3abb, v14
	v_fmamk_f16 v26, v20, 0x3abb, v22
	v_add_f16_e32 v7, v7, v21
	v_mul_f16_e32 v21, 0xbb47, v12
	v_mul_f16_e32 v28, 0x36a6, v14
	;; [unrolled: 1-line block ×8, first 2 shown]
	v_add_f16_e32 v57, v44, v19
	v_mul_f16_e32 v58, 0xbb47, v55
	v_add_f16_e32 v13, v24, v13
	v_add_f16_e32 v11, v11, v18
	v_fmamk_f16 v18, v23, 0x3853, v25
	v_add_f16_e32 v26, v10, v26
	v_fma_f16 v22, v20, 0x3abb, -v22
	v_fmac_f16_e32 v25, 0xb853, v23
	v_fmamk_f16 v27, v20, 0x36a6, v21
	v_fmamk_f16 v30, v23, 0x3b47, v28
	v_fma_f16 v21, v20, 0x36a6, -v21
	v_fmac_f16_e32 v28, 0xbb47, v23
	v_fmamk_f16 v46, v20, 0xb08e, v29
	v_fmamk_f16 v48, v23, 0x3beb, v47
	;; [unrolled: 4-line block ×4, first 2 shown]
	v_fma_f16 v12, v20, 0xbbad, -v12
	v_fmac_f16_e32 v14, 0xb482, v23
	v_sub_f16_e32 v19, v44, v19
	v_fmamk_f16 v20, v57, 0x36a6, v58
	v_mul_f16_e32 v23, 0x36a6, v13
	v_add_f16_sdwa v18, v10, v18 dst_sel:DWORD dst_unused:UNUSED_PAD src0_sel:WORD_1 src1_sel:DWORD
	v_add_f16_e32 v22, v10, v22
	v_add_f16_sdwa v25, v10, v25 dst_sel:DWORD dst_unused:UNUSED_PAD src0_sel:WORD_1 src1_sel:DWORD
	v_add_f16_e32 v27, v10, v27
	;; [unrolled: 2-line block ×10, first 2 shown]
	v_fmamk_f16 v20, v19, 0x3b47, v23
	v_mul_f16_e32 v26, 0xba0c, v55
	v_fma_f16 v44, v57, 0x36a6, -v58
	v_fmac_f16_e32 v23, 0xbb47, v19
	v_mul_f16_e32 v56, 0xb93d, v13
	v_add_f16_e32 v18, v20, v18
	v_fmamk_f16 v20, v57, 0xb93d, v26
	v_add_f16_e32 v22, v44, v22
	v_add_f16_e32 v23, v23, v25
	v_fmamk_f16 v25, v19, 0x3a0c, v56
	v_mul_f16_e32 v44, 0x3482, v55
	v_add_f16_e32 v20, v20, v27
	v_fma_f16 v26, v57, 0xb93d, -v26
	v_fmac_f16_e32 v56, 0xba0c, v19
	v_add_f16_e32 v25, v25, v30
	v_fmamk_f16 v27, v57, 0xbbad, v44
	v_mul_f16_e32 v30, 0xbbad, v13
	v_add_f16_e32 v21, v26, v21
	v_add_f16_e32 v26, v56, v28
	v_mul_f16_e32 v28, 0x3beb, v55
	v_add_f16_e32 v27, v27, v46
	v_fmamk_f16 v46, v19, 0xb482, v30
	v_fmac_f16_e32 v30, 0x3482, v19
	v_mul_f16_e32 v58, 0xb08e, v13
	v_fmamk_f16 v56, v57, 0xb08e, v28
	v_mul_f16_e32 v13, 0x3abb, v13
	v_fma_f16 v28, v57, 0xb08e, -v28
	v_add_f16_e32 v30, v30, v47
	v_fmamk_f16 v47, v19, 0xbbeb, v58
	v_fmac_f16_e32 v58, 0x3beb, v19
	v_fma_f16 v44, v57, 0xbbad, -v44
	v_add_f16_e32 v46, v46, v48
	v_mul_f16_e32 v48, 0x3853, v55
	v_add_f16_e32 v47, v47, v53
	v_fmamk_f16 v53, v19, 0xb853, v13
	v_add_f16_e32 v28, v28, v49
	v_add_f16_e32 v49, v58, v51
	v_sub_f16_e32 v51, v5, v3
	v_add_f16_e32 v3, v5, v3
	v_add_f16_e32 v29, v44, v29
	v_add_f16_e32 v44, v56, v52
	v_fmamk_f16 v52, v57, 0x3abb, v48
	v_add_f16_e32 v24, v53, v24
	v_add_f16_e32 v53, v45, v16
	v_mul_f16_e32 v5, 0xbbeb, v51
	v_fma_f16 v48, v57, 0x3abb, -v48
	v_fmac_f16_e32 v13, 0x3853, v19
	v_sub_f16_e32 v16, v45, v16
	v_mul_f16_e32 v19, 0xb08e, v3
	v_fmamk_f16 v45, v53, 0xb08e, v5
	v_add_f16_e32 v12, v48, v12
	v_add_f16_e32 v10, v13, v10
	v_mul_f16_e32 v13, 0x3482, v51
	v_fmamk_f16 v48, v16, 0x3beb, v19
	v_add_f16_e32 v14, v45, v14
	v_fma_f16 v5, v53, 0xb08e, -v5
	v_fmac_f16_e32 v19, 0xbbeb, v16
	v_fmamk_f16 v45, v53, 0xbbad, v13
	v_add_f16_e32 v18, v48, v18
	v_mul_f16_e32 v48, 0xbbad, v3
	v_add_f16_e32 v5, v5, v22
	v_add_f16_e32 v19, v19, v23
	v_add_f16_e32 v20, v45, v20
	v_mul_f16_e32 v22, 0x3b47, v51
	v_fmamk_f16 v23, v16, 0xb482, v48
	v_mul_f16_e32 v45, 0x36a6, v3
	v_add_f16_e32 v52, v52, v54
	v_fma_f16 v13, v53, 0xbbad, -v13
	v_fmac_f16_e32 v48, 0x3482, v16
	v_fmamk_f16 v54, v53, 0x36a6, v22
	v_add_f16_e32 v23, v23, v25
	v_fmamk_f16 v25, v16, 0xbb47, v45
	v_add_f16_e32 v13, v13, v21
	v_add_f16_e32 v21, v48, v26
	;; [unrolled: 1-line block ×3, first 2 shown]
	v_mul_f16_e32 v27, 0xb853, v51
	v_fma_f16 v22, v53, 0x36a6, -v22
	v_fmac_f16_e32 v45, 0x3b47, v16
	v_add_f16_e32 v25, v25, v46
	v_mul_f16_e32 v46, 0x3abb, v3
	v_fmamk_f16 v48, v53, 0x3abb, v27
	v_add_f16_e32 v22, v22, v29
	v_add_f16_e32 v29, v45, v30
	v_mul_f16_e32 v30, 0xba0c, v51
	v_fmamk_f16 v45, v16, 0x3853, v46
	v_add_f16_e32 v44, v48, v44
	v_fma_f16 v27, v53, 0x3abb, -v27
	v_fmac_f16_e32 v46, 0xb853, v16
	v_fmamk_f16 v48, v53, 0xb93d, v30
	v_add_f16_e32 v45, v45, v47
	v_mul_f16_e32 v3, 0xb93d, v3
	v_sub_f16_e32 v47, v4, v2
	v_add_f16_e32 v2, v4, v2
	v_add_f16_e32 v27, v27, v28
	;; [unrolled: 1-line block ×4, first 2 shown]
	v_fmamk_f16 v48, v16, 0x3a0c, v3
	v_fma_f16 v30, v53, 0xb93d, -v30
	v_add_f16_e32 v4, v50, v17
	v_mul_f16_e32 v49, 0xba0c, v47
	v_fmac_f16_e32 v3, 0xba0c, v16
	v_sub_f16_e32 v16, v50, v17
	v_mul_f16_e32 v17, 0xb93d, v2
	v_add_f16_e32 v24, v48, v24
	v_fmamk_f16 v48, v4, 0xb93d, v49
	v_add_f16_e32 v12, v30, v12
	v_add_f16_e32 v3, v3, v10
	v_fmamk_f16 v10, v16, 0x3a0c, v17
	v_mul_f16_e32 v30, 0x3beb, v47
	v_fmac_f16_e32 v17, 0xba0c, v16
	v_add_f16_e32 v14, v48, v14
	v_fma_f16 v48, v4, 0xb93d, -v49
	v_add_f16_e32 v10, v10, v18
	v_fmamk_f16 v18, v4, 0xb08e, v30
	v_mul_f16_e32 v49, 0xb08e, v2
	v_add_f16_e32 v17, v17, v19
	v_mul_f16_e32 v19, 0xb853, v47
	v_add_f16_e32 v5, v48, v5
	v_add_f16_e32 v18, v18, v20
	v_fmamk_f16 v20, v16, 0xbbeb, v49
	v_fma_f16 v30, v4, 0xb08e, -v30
	v_fmamk_f16 v48, v4, 0x3abb, v19
	v_mul_f16_e32 v50, 0x3abb, v2
	v_fma_f16 v19, v4, 0x3abb, -v19
	v_add_f16_e32 v20, v20, v23
	v_add_f16_e32 v13, v30, v13
	;; [unrolled: 1-line block ×3, first 2 shown]
	v_fmamk_f16 v26, v16, 0x3853, v50
	v_mul_f16_e32 v30, 0xb482, v47
	v_mul_f16_e32 v48, 0xbbad, v2
	v_mul_f16_e32 v47, 0x3b47, v47
	v_add_f16_e32 v19, v19, v22
	v_add_f16_e32 v25, v26, v25
	v_fmamk_f16 v26, v4, 0xbbad, v30
	v_fma_f16 v30, v4, 0xbbad, -v30
	v_fmamk_f16 v22, v16, 0x3482, v48
	v_fmac_f16_e32 v48, 0xb482, v16
	v_mul_f16_e32 v2, 0x36a6, v2
	v_add_f16_e32 v26, v26, v44
	v_fmamk_f16 v44, v4, 0x36a6, v47
	v_add_f16_e32 v27, v30, v27
	v_sub_f16_e32 v30, v0, v1
	v_add_f16_e32 v28, v48, v28
	v_add_f16_e32 v0, v0, v1
	;; [unrolled: 1-line block ×4, first 2 shown]
	v_mul_f16_e32 v48, 0xb482, v30
	v_add_f16_e32 v22, v22, v45
	v_fmamk_f16 v45, v16, 0xbb47, v2
	v_fma_f16 v1, v4, 0x36a6, -v47
	v_fmac_f16_e32 v2, 0x3b47, v16
	v_sub_f16_e32 v4, v6, v15
	v_fmamk_f16 v6, v46, 0xbbad, v48
	v_mul_f16_e32 v15, 0xbbad, v0
	v_fmac_f16_e32 v49, 0x3beb, v16
	v_fmac_f16_e32 v50, 0xb853, v16
	v_add_f16_e32 v16, v45, v24
	v_add_f16_e32 v1, v1, v12
	;; [unrolled: 1-line block ×4, first 2 shown]
	v_fmamk_f16 v6, v4, 0x3482, v15
	v_mul_f16_e32 v12, 0x3853, v30
	v_fma_f16 v14, v46, 0xbbad, -v48
	v_fmac_f16_e32 v15, 0xb482, v4
	v_mul_f16_e32 v24, 0x3abb, v0
	v_add_f16_e32 v6, v6, v10
	v_fmamk_f16 v10, v46, 0x3abb, v12
	v_add_f16_e32 v5, v14, v5
	v_add_f16_e32 v14, v15, v17
	v_fmamk_f16 v15, v4, 0xb853, v24
	v_mul_f16_e32 v17, 0xba0c, v30
	v_add_f16_e32 v21, v49, v21
	v_add_f16_e32 v10, v10, v18
	v_fma_f16 v12, v46, 0x3abb, -v12
	v_fmac_f16_e32 v24, 0x3853, v4
	v_add_f16_e32 v15, v15, v20
	v_fmamk_f16 v18, v46, 0xb93d, v17
	v_mul_f16_e32 v20, 0xb93d, v0
	v_add_f16_e32 v12, v12, v13
	v_add_f16_e32 v13, v24, v21
	v_mul_f16_e32 v21, 0x3b47, v30
	v_add_f16_e32 v18, v18, v23
	v_fmamk_f16 v23, v4, 0x3a0c, v20
	v_add_f16_e32 v29, v50, v29
	v_fma_f16 v17, v46, 0xb93d, -v17
	v_fmac_f16_e32 v20, 0xba0c, v4
	v_fmamk_f16 v24, v46, 0x36a6, v21
	v_mul_f16_e32 v45, 0x36a6, v0
	v_add_f16_e32 v23, v23, v25
	v_fma_f16 v21, v46, 0x36a6, -v21
	v_mul_f16_e32 v25, 0xbbeb, v30
	v_mul_f16_e32 v0, 0xb08e, v0
	v_add_f16_e32 v17, v17, v19
	v_add_f16_e32 v19, v20, v29
	;; [unrolled: 1-line block ×3, first 2 shown]
	v_fmamk_f16 v24, v4, 0xbb47, v45
	v_add_f16_e32 v21, v21, v27
	v_fmamk_f16 v26, v46, 0xb08e, v25
	v_fmamk_f16 v27, v4, 0x3beb, v0
	v_fmac_f16_e32 v45, 0x3b47, v4
	v_fma_f16 v25, v46, 0xb08e, -v25
	v_fmac_f16_e32 v0, 0xbbeb, v4
	v_pack_b32_f16 v4, v7, v11
	v_pack_b32_f16 v3, v3, v6
	v_add_f16_e32 v22, v24, v22
	v_add_f16_e32 v6, v26, v44
	;; [unrolled: 1-line block ×6, first 2 shown]
	ds_write2_b32 v33, v4, v3 offset1:33
	v_pack_b32_f16 v2, v10, v15
	v_pack_b32_f16 v3, v18, v23
	v_pack_b32_f16 v4, v20, v22
	v_pack_b32_f16 v6, v6, v7
	v_pack_b32_f16 v0, v1, v0
	v_pack_b32_f16 v1, v21, v24
	v_pack_b32_f16 v7, v17, v19
	v_pack_b32_f16 v10, v12, v13
	v_pack_b32_f16 v5, v5, v14
	ds_write2_b32 v33, v2, v3 offset0:66 offset1:99
	ds_write2_b32 v33, v4, v6 offset0:132 offset1:165
	;; [unrolled: 1-line block ×4, first 2 shown]
	ds_write_b32 v33, v5 offset:1320
	s_waitcnt lgkmcnt(0)
	s_barrier
	buffer_gl0_inv
	ds_read2_b32 v[0:1], v33 offset1:33
	s_waitcnt lgkmcnt(0)
	v_lshrrev_b32_e32 v4, 16, v0
	v_lshrrev_b32_e32 v13, 16, v1
	v_mul_f16_sdwa v2, v43, v4 dst_sel:DWORD dst_unused:UNUSED_PAD src0_sel:WORD_1 src1_sel:DWORD
	v_fmac_f16_e32 v2, v43, v0
	v_mul_f16_sdwa v0, v43, v0 dst_sel:DWORD dst_unused:UNUSED_PAD src0_sel:WORD_1 src1_sel:DWORD
	v_cvt_f32_f16_e32 v2, v2
	v_fma_f16 v0, v43, v4, -v0
	v_cvt_f64_f32_e32 v[2:3], v2
	v_cvt_f32_f16_e32 v0, v0
	v_cvt_f64_f32_e32 v[4:5], v0
	v_mul_f64 v[2:3], v[2:3], s[2:3]
	v_mul_f64 v[4:5], v[4:5], s[2:3]
	v_and_or_b32 v0, 0x1ff, v3, v2
	v_lshrrev_b32_e32 v2, 8, v3
	v_bfe_u32 v12, v3, 20, 11
	v_cmp_ne_u32_e32 vcc_lo, 0, v0
	v_and_or_b32 v4, 0x1ff, v5, v4
	v_sub_nc_u32_e32 v6, 0x3f1, v12
	v_lshrrev_b32_e32 v16, 8, v5
	v_bfe_u32 v17, v5, 20, 11
	v_cndmask_b32_e64 v0, 0, 1, vcc_lo
	v_cmp_ne_u32_e32 vcc_lo, 0, v4
	v_med3_i32 v10, v6, 0, 13
	v_add_nc_u32_e32 v18, 0xfffffc10, v12
	v_lshrrev_b32_e32 v5, 16, v5
	v_and_or_b32 v2, 0xffe, v2, v0
	v_mul_f16_sdwa v0, v42, v13 dst_sel:DWORD dst_unused:UNUSED_PAD src0_sel:WORD_1 src1_sel:DWORD
	v_cndmask_b32_e64 v4, 0, 1, vcc_lo
	v_or_b32_e32 v14, 0x1000, v2
	v_fmac_f16_e32 v0, v42, v1
	v_and_or_b32 v4, 0xffe, v16, v4
	v_sub_nc_u32_e32 v16, 0x3f1, v17
	v_lshrrev_b32_e32 v15, v10, v14
	v_cvt_f32_f16_e32 v0, v0
	v_or_b32_e32 v19, 0x1000, v4
	v_med3_i32 v16, v16, 0, 13
	v_cvt_f64_f32_e32 v[6:7], v0
	v_lshlrev_b32_e32 v0, v10, v15
	v_mad_u64_u32 v[10:11], null, s10, v8, 0
	v_lshrrev_b32_e32 v20, v16, v19
	v_cmp_ne_u32_e32 vcc_lo, v0, v14
	v_mov_b32_e32 v0, v11
	v_cndmask_b32_e64 v14, 0, 1, vcc_lo
	v_cmp_gt_i32_e32 vcc_lo, 1, v18
	v_mad_u64_u32 v[11:12], null, s11, v8, v[0:1]
	v_or_b32_e32 v14, v15, v14
	v_lshl_or_b32 v15, v18, 12, v2
	v_lshlrev_b32_e32 v8, v16, v20
	v_mul_f16_sdwa v1, v42, v1 dst_sel:DWORD dst_unused:UNUSED_PAD src0_sel:WORD_1 src1_sel:DWORD
	v_mul_f64 v[6:7], v[6:7], s[2:3]
	v_cndmask_b32_e32 v0, v15, v14, vcc_lo
	v_cmp_ne_u32_e32 vcc_lo, v8, v19
	v_add_nc_u32_e32 v14, 0xfffffc10, v17
	v_fma_f16 v1, v42, v13, -v1
	v_lshlrev_b64 v[10:11], 2, v[10:11]
	v_and_b32_e32 v12, 7, v0
	v_cndmask_b32_e64 v8, 0, 1, vcc_lo
	v_lshrrev_b32_e32 v0, 2, v0
	v_lshl_or_b32 v15, v14, 12, v4
	v_cmp_gt_i32_e64 s1, 1, v14
	v_cmp_lt_i32_e32 vcc_lo, 5, v12
	v_cmp_eq_u32_e64 s0, 3, v12
	v_or_b32_e32 v8, v20, v8
	v_cvt_f32_f16_e32 v1, v1
	s_or_b32 vcc_lo, s0, vcc_lo
	v_cndmask_b32_e64 v8, v15, v8, s1
	v_add_co_ci_u32_e32 v12, vcc_lo, 0, v0, vcc_lo
	v_cmp_gt_i32_e32 vcc_lo, 31, v18
	v_and_or_b32 v6, 0x1ff, v7, v6
	v_cvt_f64_f32_e32 v[0:1], v1
	v_and_b32_e32 v13, 7, v8
	v_lshrrev_b32_e32 v8, 2, v8
	v_cndmask_b32_e32 v15, 0x7c00, v12, vcc_lo
	v_cmp_ne_u32_e32 vcc_lo, 0, v2
	v_cmp_ne_u32_e64 s0, 0, v6
	v_lshrrev_b32_e32 v12, 8, v7
	v_bfe_u32 v16, v7, 20, 11
	v_cndmask_b32_e64 v2, 0, 1, vcc_lo
	v_cmp_lt_i32_e32 vcc_lo, 5, v13
	v_cndmask_b32_e64 v6, 0, 1, s0
	v_cmp_eq_u32_e64 s0, 3, v13
	v_lshl_or_b32 v2, v2, 9, 0x7c00
	v_and_or_b32 v6, 0xffe, v12, v6
	s_or_b32 vcc_lo, s0, vcc_lo
	v_sub_nc_u32_e32 v12, 0x3f1, v16
	v_add_co_ci_u32_e32 v8, vcc_lo, 0, v8, vcc_lo
	v_cmp_ne_u32_e32 vcc_lo, 0, v4
	v_or_b32_e32 v17, 0x1000, v6
	v_med3_i32 v19, v12, 0, 13
	v_mul_f64 v[0:1], v[0:1], s[2:3]
	ds_read2_b32 v[12:13], v33 offset0:66 offset1:99
	v_cndmask_b32_e64 v4, 0, 1, vcc_lo
	v_cmp_gt_i32_e32 vcc_lo, 31, v14
	v_lshrrev_b32_e32 v20, v19, v17
	v_add_nc_u32_e32 v16, 0xfffffc10, v16
	v_lshl_or_b32 v4, v4, 9, 0x7c00
	v_cndmask_b32_e32 v8, 0x7c00, v8, vcc_lo
	v_cmp_eq_u32_e32 vcc_lo, 0x40f, v18
	v_lshlrev_b32_e32 v19, v19, v20
	v_lshrrev_b32_e32 v18, 16, v3
	v_cndmask_b32_e32 v15, v15, v2, vcc_lo
	v_cmp_eq_u32_e32 vcc_lo, 0x40f, v14
	v_mad_u64_u32 v[2:3], null, s8, v40, 0
	v_and_or_b32 v14, 0x8000, v18, v15
	v_cndmask_b32_e32 v4, v8, v4, vcc_lo
	v_cmp_ne_u32_e32 vcc_lo, v19, v17
	s_waitcnt lgkmcnt(0)
	v_lshrrev_b32_e32 v17, 16, v12
	v_lshrrev_b32_e32 v19, 8, v1
	v_and_b32_e32 v14, 0xffff, v14
	v_and_or_b32 v15, 0x8000, v5, v4
	v_cndmask_b32_e64 v8, 0, 1, vcc_lo
	v_lshl_or_b32 v5, v16, 12, v6
	v_cmp_gt_i32_e32 vcc_lo, 1, v16
	v_lshl_or_b32 v22, v15, 16, v14
	v_or_b32_e32 v4, v20, v8
	v_and_or_b32 v8, 0x1ff, v1, v0
	v_mov_b32_e32 v0, v3
	v_bfe_u32 v20, v1, 20, 11
	v_cndmask_b32_e32 v18, v5, v4, vcc_lo
	v_cmp_ne_u32_e32 vcc_lo, 0, v8
	v_mul_f16_sdwa v8, v41, v17 dst_sel:DWORD dst_unused:UNUSED_PAD src0_sel:WORD_1 src1_sel:DWORD
	v_mad_u64_u32 v[3:4], null, s9, v40, v[0:1]
	v_sub_nc_u32_e32 v4, 0x3f1, v20
	v_cndmask_b32_e64 v5, 0, 1, vcc_lo
	v_fmac_f16_e32 v8, v41, v12
	v_and_b32_e32 v0, 7, v18
	v_mul_f16_sdwa v12, v41, v12 dst_sel:DWORD dst_unused:UNUSED_PAD src0_sel:WORD_1 src1_sel:DWORD
	v_med3_i32 v21, v4, 0, 13
	v_and_or_b32 v19, 0xffe, v19, v5
	v_cvt_f32_f16_e32 v5, v8
	v_cmp_lt_i32_e32 vcc_lo, 5, v0
	v_cmp_eq_u32_e64 s0, 3, v0
	v_lshrrev_b32_e32 v0, 2, v18
	v_or_b32_e32 v8, 0x1000, v19
	v_cvt_f64_f32_e32 v[4:5], v5
	v_add_nc_u32_e32 v20, 0xfffffc10, v20
	s_or_b32 vcc_lo, s0, vcc_lo
	v_fma_f16 v12, v41, v17, -v12
	v_lshrrev_b32_e32 v18, v21, v8
	v_add_co_ci_u32_e32 v0, vcc_lo, 0, v0, vcc_lo
	v_cmp_gt_i32_e32 vcc_lo, 31, v16
	v_cvt_f32_f16_e32 v12, v12
	v_lshlrev_b32_e32 v14, v21, v18
	v_lshlrev_b64 v[2:3], 2, v[2:3]
	v_cndmask_b32_e32 v0, 0x7c00, v0, vcc_lo
	v_cmp_ne_u32_e32 vcc_lo, v14, v8
	v_lshl_or_b32 v14, v20, 12, v19
	v_cndmask_b32_e64 v8, 0, 1, vcc_lo
	v_cmp_ne_u32_e32 vcc_lo, 0, v6
	v_mul_f64 v[4:5], v[4:5], s[2:3]
	v_or_b32_e32 v8, v18, v8
	v_cndmask_b32_e64 v6, 0, 1, vcc_lo
	v_cmp_gt_i32_e32 vcc_lo, 1, v20
	v_lshl_or_b32 v6, v6, 9, 0x7c00
	v_cndmask_b32_e32 v8, v14, v8, vcc_lo
	v_cvt_f64_f32_e32 v[14:15], v12
	v_add_co_u32 v10, vcc_lo, s4, v10
	v_add_co_ci_u32_e32 v11, vcc_lo, s5, v11, vcc_lo
	v_cmp_eq_u32_e32 vcc_lo, 0x40f, v16
	v_and_b32_e32 v12, 7, v8
	v_add_co_u32 v2, s1, v10, v2
	v_lshrrev_b32_e32 v10, 16, v13
	v_cndmask_b32_e32 v0, v0, v6, vcc_lo
	v_lshrrev_b32_e32 v6, 16, v7
	v_cmp_lt_i32_e32 vcc_lo, 5, v12
	v_cmp_eq_u32_e64 s0, 3, v12
	v_lshrrev_b32_e32 v7, 2, v8
	v_add_co_ci_u32_e64 v3, s1, v11, v3, s1
	v_and_or_b32 v8, 0x8000, v6, v0
	v_and_or_b32 v0, 0x1ff, v5, v4
	s_or_b32 vcc_lo, s0, vcc_lo
	v_lshrrev_b32_e32 v11, 8, v5
	v_add_co_ci_u32_e32 v4, vcc_lo, 0, v7, vcc_lo
	v_mul_f64 v[6:7], v[14:15], s[2:3]
	v_cmp_ne_u32_e32 vcc_lo, 0, v0
	v_bfe_u32 v12, v5, 20, 11
	v_mul_f16_sdwa v14, v39, v10 dst_sel:DWORD dst_unused:UNUSED_PAD src0_sel:WORD_1 src1_sel:DWORD
	v_and_b32_e32 v8, 0xffff, v8
	s_mul_i32 s0, s9, 0x84
	v_cndmask_b32_e64 v0, 0, 1, vcc_lo
	v_cmp_ne_u32_e32 vcc_lo, 0, v19
	v_fmac_f16_e32 v14, v39, v13
	s_mul_hi_u32 s4, s8, 0x84
	v_lshrrev_b32_e32 v5, 16, v5
	v_and_or_b32 v16, 0xffe, v11, v0
	v_cndmask_b32_e64 v15, 0, 1, vcc_lo
	v_sub_nc_u32_e32 v0, 0x3f1, v12
	v_cmp_gt_i32_e32 vcc_lo, 31, v20
	s_add_i32 s4, s4, s0
	global_store_dword v[2:3], v22, off
	v_lshl_or_b32 v11, v15, 9, 0x7c00
	v_or_b32_e32 v15, 0x1000, v16
	v_cndmask_b32_e32 v4, 0x7c00, v4, vcc_lo
	v_med3_i32 v17, v0, 0, 13
	v_cmp_eq_u32_e32 vcc_lo, 0x40f, v20
	v_cvt_f32_f16_e32 v0, v14
	v_and_or_b32 v6, 0x1ff, v7, v6
	v_bfe_u32 v18, v7, 20, 11
	v_lshrrev_b32_e32 v14, v17, v15
	v_cndmask_b32_e32 v4, v4, v11, vcc_lo
	v_lshrrev_b32_e32 v11, 16, v1
	v_cvt_f64_f32_e32 v[0:1], v0
	v_cmp_ne_u32_e32 vcc_lo, 0, v6
	s_mul_i32 s5, s8, 0x84
	v_and_or_b32 v4, 0x8000, v11, v4
	v_lshlrev_b32_e32 v11, v17, v14
	v_cndmask_b32_e64 v6, 0, 1, vcc_lo
	v_lshrrev_b32_e32 v17, 8, v7
	v_lshrrev_b32_e32 v7, 16, v7
	v_lshl_or_b32 v8, v4, 16, v8
	v_cmp_ne_u32_e32 vcc_lo, v11, v15
	v_add_nc_u32_e32 v15, 0xfffffc10, v12
	v_and_or_b32 v4, 0xffe, v17, v6
	v_sub_nc_u32_e32 v6, 0x3f1, v18
	v_cndmask_b32_e64 v11, 0, 1, vcc_lo
	v_lshl_or_b32 v12, v15, 12, v16
	v_cmp_gt_i32_e32 vcc_lo, 1, v15
	v_med3_i32 v6, v6, 0, 13
	v_or_b32_e32 v11, v14, v11
	v_or_b32_e32 v14, 0x1000, v4
	v_mul_f64 v[0:1], v[0:1], s[2:3]
	v_cndmask_b32_e32 v11, v12, v11, vcc_lo
	v_mul_f16_sdwa v12, v39, v13 dst_sel:DWORD dst_unused:UNUSED_PAD src0_sel:WORD_1 src1_sel:DWORD
	v_lshrrev_b32_e32 v13, v6, v14
	v_and_b32_e32 v17, 7, v11
	v_fma_f16 v10, v39, v10, -v12
	v_lshlrev_b32_e32 v6, v6, v13
	v_lshrrev_b32_e32 v12, 2, v11
	v_cmp_lt_i32_e32 vcc_lo, 5, v17
	v_cmp_eq_u32_e64 s0, 3, v17
	v_cmp_ne_u32_e64 s1, v6, v14
	v_cvt_f32_f16_e32 v10, v10
	v_add_nc_u32_e32 v14, 0xfffffc10, v18
	s_or_b32 vcc_lo, s0, vcc_lo
	v_cndmask_b32_e64 v6, 0, 1, s1
	v_add_co_ci_u32_e32 v17, vcc_lo, 0, v12, vcc_lo
	v_cmp_ne_u32_e32 vcc_lo, 0, v16
	v_cvt_f64_f32_e32 v[10:11], v10
	v_or_b32_e32 v6, v13, v6
	v_lshl_or_b32 v12, v14, 12, v4
	v_and_or_b32 v0, 0x1ff, v1, v0
	v_cndmask_b32_e64 v16, 0, 1, vcc_lo
	v_cmp_gt_i32_e32 vcc_lo, 1, v14
	v_lshrrev_b32_e32 v18, 8, v1
	v_bfe_u32 v19, v1, 20, 11
	v_lshl_or_b32 v16, v16, 9, 0x7c00
	v_cndmask_b32_e32 v6, v12, v6, vcc_lo
	v_cmp_ne_u32_e32 vcc_lo, 0, v0
	ds_read2_b32 v[12:13], v33 offset0:132 offset1:165
	v_and_b32_e32 v20, 7, v6
	v_cndmask_b32_e64 v0, 0, 1, vcc_lo
	v_cmp_gt_i32_e32 vcc_lo, 31, v15
	v_cmp_eq_u32_e64 s0, 3, v20
	v_and_or_b32 v0, 0xffe, v18, v0
	v_cndmask_b32_e32 v17, 0x7c00, v17, vcc_lo
	v_cmp_eq_u32_e32 vcc_lo, 0x40f, v15
	v_mul_f64 v[10:11], v[10:11], s[2:3]
	v_sub_nc_u32_e32 v18, 0x3f1, v19
	v_cndmask_b32_e32 v15, v17, v16, vcc_lo
	v_cmp_lt_i32_e32 vcc_lo, 5, v20
	v_or_b32_e32 v16, 0x1000, v0
	v_med3_i32 v17, v18, 0, 13
	v_and_or_b32 v15, 0x8000, v5, v15
	v_lshrrev_b32_e32 v5, 2, v6
	s_or_b32 vcc_lo, s0, vcc_lo
	v_lshrrev_b32_e32 v18, v17, v16
	s_waitcnt lgkmcnt(0)
	v_lshrrev_b32_e32 v6, 16, v12
	v_and_b32_e32 v15, 0xffff, v15
	v_add_co_ci_u32_e32 v5, vcc_lo, 0, v5, vcc_lo
	v_cmp_ne_u32_e32 vcc_lo, 0, v4
	v_lshlrev_b32_e32 v17, v17, v18
	v_mul_f16_sdwa v20, v38, v6 dst_sel:DWORD dst_unused:UNUSED_PAD src0_sel:WORD_1 src1_sel:DWORD
	v_cndmask_b32_e64 v4, 0, 1, vcc_lo
	v_cmp_gt_i32_e32 vcc_lo, 31, v14
	v_fmac_f16_e32 v20, v38, v12
	v_mul_f16_sdwa v12, v38, v12 dst_sel:DWORD dst_unused:UNUSED_PAD src0_sel:WORD_1 src1_sel:DWORD
	v_lshl_or_b32 v22, v4, 9, 0x7c00
	v_cndmask_b32_e32 v21, 0x7c00, v5, vcc_lo
	v_and_or_b32 v4, 0x1ff, v11, v10
	v_cmp_ne_u32_e32 vcc_lo, v17, v16
	v_cvt_f32_f16_e32 v5, v20
	v_add_nc_u32_e32 v16, 0xfffffc10, v19
	v_lshrrev_b32_e32 v19, 8, v11
	v_bfe_u32 v20, v11, 20, 11
	v_cndmask_b32_e64 v10, 0, 1, vcc_lo
	v_cmp_ne_u32_e32 vcc_lo, 0, v4
	v_cvt_f64_f32_e32 v[4:5], v5
	v_fma_f16 v6, v38, v6, -v12
	v_add_nc_u32_e32 v12, 0xfffffc10, v20
	v_or_b32_e32 v10, v18, v10
	v_cndmask_b32_e64 v17, 0, 1, vcc_lo
	v_cmp_eq_u32_e32 vcc_lo, 0x40f, v14
	v_lshl_or_b32 v18, v16, 12, v0
	v_cvt_f32_f16_e32 v6, v6
	v_lshrrev_b32_e32 v11, 16, v11
	v_and_or_b32 v17, 0xffe, v19, v17
	v_cndmask_b32_e32 v14, v21, v22, vcc_lo
	v_sub_nc_u32_e32 v19, 0x3f1, v20
	v_cmp_gt_i32_e32 vcc_lo, 1, v16
	v_and_or_b32 v7, 0x8000, v7, v14
	v_med3_i32 v19, v19, 0, 13
	v_cndmask_b32_e32 v10, v18, v10, vcc_lo
	v_or_b32_e32 v18, 0x1000, v17
	v_add_co_u32 v2, vcc_lo, v2, s5
	v_add_co_ci_u32_e32 v3, vcc_lo, s4, v3, vcc_lo
	v_lshrrev_b32_e32 v14, v19, v18
	v_and_b32_e32 v21, 7, v10
	v_mul_f64 v[4:5], v[4:5], s[2:3]
	global_store_dword v[2:3], v8, off
	v_lshl_or_b32 v8, v7, 16, v15
	v_lshlrev_b32_e32 v19, v19, v14
	v_cmp_lt_i32_e32 vcc_lo, 5, v21
	v_lshrrev_b32_e32 v10, 2, v10
	v_lshl_or_b32 v15, v12, 12, v17
	v_cmp_ne_u32_e64 s0, v19, v18
	v_cndmask_b32_e64 v7, 0, 1, s0
	v_cmp_eq_u32_e64 s0, 3, v21
	v_or_b32_e32 v14, v14, v7
	s_or_b32 vcc_lo, s0, vcc_lo
	v_cvt_f64_f32_e32 v[6:7], v6
	v_add_co_ci_u32_e32 v10, vcc_lo, 0, v10, vcc_lo
	v_cmp_ne_u32_e32 vcc_lo, 0, v0
	v_and_or_b32 v4, 0x1ff, v5, v4
	v_lshrrev_b32_e32 v18, 8, v5
	v_bfe_u32 v19, v5, 20, 11
	v_cndmask_b32_e64 v0, 0, 1, vcc_lo
	v_cmp_gt_i32_e32 vcc_lo, 1, v12
	v_lshl_or_b32 v0, v0, 9, 0x7c00
	v_cndmask_b32_e32 v14, v15, v14, vcc_lo
	v_cmp_gt_i32_e32 vcc_lo, 31, v16
	v_and_b32_e32 v15, 7, v14
	v_cndmask_b32_e32 v10, 0x7c00, v10, vcc_lo
	v_cmp_ne_u32_e32 vcc_lo, 0, v4
	v_cmp_eq_u32_e64 s0, 3, v15
	v_cndmask_b32_e64 v4, 0, 1, vcc_lo
	v_cmp_eq_u32_e32 vcc_lo, 0x40f, v16
	v_lshrrev_b32_e32 v16, 16, v1
	v_and_or_b32 v4, 0xffe, v18, v4
	v_cndmask_b32_e32 v10, v10, v0, vcc_lo
	v_cmp_lt_i32_e32 vcc_lo, 5, v15
	v_mul_f64 v[0:1], v[6:7], s[2:3]
	v_lshrrev_b32_e32 v6, 2, v14
	v_sub_nc_u32_e32 v18, 0x3f1, v19
	v_or_b32_e32 v7, 0x1000, v4
	s_or_b32 vcc_lo, s0, vcc_lo
	v_lshrrev_b32_e32 v15, 16, v13
	v_add_co_ci_u32_e32 v6, vcc_lo, 0, v6, vcc_lo
	v_med3_i32 v14, v18, 0, 13
	v_cmp_ne_u32_e32 vcc_lo, 0, v17
	v_mul_f16_sdwa v20, v37, v15 dst_sel:DWORD dst_unused:UNUSED_PAD src0_sel:WORD_1 src1_sel:DWORD
	v_and_or_b32 v10, 0x8000, v16, v10
	v_add_nc_u32_e32 v16, 0xfffffc10, v19
	v_lshrrev_b32_e32 v18, v14, v7
	v_cndmask_b32_e64 v17, 0, 1, vcc_lo
	v_cmp_gt_i32_e32 vcc_lo, 31, v12
	v_fmac_f16_e32 v20, v37, v13
	v_and_b32_e32 v10, 0xffff, v10
	v_lshlrev_b32_e32 v14, v14, v18
	v_lshl_or_b32 v17, v17, 9, 0x7c00
	v_cndmask_b32_e32 v6, 0x7c00, v6, vcc_lo
	v_cmp_eq_u32_e32 vcc_lo, 0x40f, v12
	v_and_or_b32 v0, 0x1ff, v1, v0
	v_bfe_u32 v19, v1, 20, 11
	v_mul_f16_sdwa v13, v37, v13 dst_sel:DWORD dst_unused:UNUSED_PAD src0_sel:WORD_1 src1_sel:DWORD
	v_cndmask_b32_e32 v12, v6, v17, vcc_lo
	v_cmp_ne_u32_e32 vcc_lo, v14, v7
	v_cvt_f32_f16_e32 v6, v20
	v_lshrrev_b32_e32 v17, 8, v1
	v_fma_f16 v13, v37, v15, -v13
	v_and_or_b32 v11, 0x8000, v11, v12
	v_cndmask_b32_e64 v14, 0, 1, vcc_lo
	v_cmp_ne_u32_e32 vcc_lo, 0, v0
	v_cvt_f64_f32_e32 v[6:7], v6
	v_cvt_f32_f16_e32 v13, v13
	v_or_b32_e32 v12, v18, v14
	v_cndmask_b32_e64 v0, 0, 1, vcc_lo
	v_lshl_or_b32 v14, v16, 12, v4
	v_cmp_gt_i32_e32 vcc_lo, 1, v16
	v_lshl_or_b32 v18, v11, 16, v10
	v_and_or_b32 v0, 0xffe, v17, v0
	v_sub_nc_u32_e32 v17, 0x3f1, v19
	v_cndmask_b32_e32 v12, v14, v12, vcc_lo
	v_add_co_u32 v2, vcc_lo, v2, s5
	v_or_b32_e32 v14, 0x1000, v0
	v_med3_i32 v17, v17, 0, 13
	v_add_co_ci_u32_e32 v3, vcc_lo, s4, v3, vcc_lo
	v_and_b32_e32 v20, 7, v12
	v_add_co_u32 v10, vcc_lo, v2, s5
	v_lshrrev_b32_e32 v21, v17, v14
	v_mul_f64 v[6:7], v[6:7], s[2:3]
	v_add_co_ci_u32_e32 v11, vcc_lo, s4, v3, vcc_lo
	v_cmp_lt_i32_e32 vcc_lo, 5, v20
	v_lshlrev_b32_e32 v17, v17, v21
	v_cmp_eq_u32_e64 s0, 3, v20
	v_lshrrev_b32_e32 v12, 2, v12
	v_cmp_ne_u32_e64 s1, v17, v14
	s_or_b32 vcc_lo, s0, vcc_lo
	v_add_nc_u32_e32 v17, 0xfffffc10, v19
	v_add_co_ci_u32_e32 v19, vcc_lo, 0, v12, vcc_lo
	v_cndmask_b32_e64 v14, 0, 1, s1
	v_cmp_ne_u32_e32 vcc_lo, 0, v4
	v_cvt_f64_f32_e32 v[12:13], v13
	v_or_b32_e32 v20, v21, v14
	v_lshl_or_b32 v21, v17, 12, v0
	v_cndmask_b32_e64 v4, 0, 1, vcc_lo
	v_cmp_gt_i32_e32 vcc_lo, 1, v17
	v_and_or_b32 v6, 0x1ff, v7, v6
	ds_read2_b32 v[14:15], v33 offset0:198 offset1:231
	v_lshrrev_b32_e32 v22, 8, v7
	v_lshl_or_b32 v4, v4, 9, 0x7c00
	v_cndmask_b32_e32 v20, v21, v20, vcc_lo
	v_cmp_gt_i32_e32 vcc_lo, 31, v16
	v_bfe_u32 v23, v7, 20, 11
	global_store_dword v[2:3], v8, off
	global_store_dword v[10:11], v18, off
	v_lshrrev_b32_e32 v7, 16, v7
	v_and_b32_e32 v21, 7, v20
	v_cndmask_b32_e32 v19, 0x7c00, v19, vcc_lo
	v_cmp_ne_u32_e32 vcc_lo, 0, v6
	v_cmp_eq_u32_e64 s0, 3, v21
	v_cndmask_b32_e64 v6, 0, 1, vcc_lo
	v_cmp_eq_u32_e32 vcc_lo, 0x40f, v16
	v_and_or_b32 v6, 0xffe, v22, v6
	v_cndmask_b32_e32 v16, v19, v4, vcc_lo
	v_cmp_lt_i32_e32 vcc_lo, 5, v21
	v_lshrrev_b32_e32 v19, 16, v5
	v_mul_f64 v[4:5], v[12:13], s[2:3]
	v_lshrrev_b32_e32 v13, 2, v20
	v_sub_nc_u32_e32 v22, 0x3f1, v23
	s_or_b32 vcc_lo, s0, vcc_lo
	v_or_b32_e32 v20, 0x1000, v6
	s_waitcnt lgkmcnt(0)
	v_lshrrev_b32_e32 v12, 16, v14
	v_add_co_ci_u32_e32 v13, vcc_lo, 0, v13, vcc_lo
	v_med3_i32 v21, v22, 0, 13
	v_cmp_ne_u32_e32 vcc_lo, 0, v0
	v_mul_f16_sdwa v22, v36, v12 dst_sel:DWORD dst_unused:UNUSED_PAD src0_sel:WORD_1 src1_sel:DWORD
	v_and_or_b32 v16, 0x8000, v19, v16
	v_lshrrev_b32_e32 v24, v21, v20
	v_cndmask_b32_e64 v0, 0, 1, vcc_lo
	v_cmp_gt_i32_e32 vcc_lo, 31, v17
	v_fmac_f16_e32 v22, v36, v14
	v_and_b32_e32 v16, 0xffff, v16
	v_lshlrev_b32_e32 v19, v21, v24
	v_lshl_or_b32 v0, v0, 9, 0x7c00
	v_cndmask_b32_e32 v13, 0x7c00, v13, vcc_lo
	v_cmp_eq_u32_e32 vcc_lo, 0x40f, v17
	v_and_or_b32 v4, 0x1ff, v5, v4
	v_cvt_f32_f16_e32 v21, v22
	v_lshrrev_b32_e32 v17, 16, v1
	v_bfe_u32 v22, v5, 20, 11
	v_cndmask_b32_e32 v13, v13, v0, vcc_lo
	v_cmp_ne_u32_e32 vcc_lo, v19, v20
	v_cvt_f64_f32_e32 v[0:1], v21
	v_add_nc_u32_e32 v20, 0xfffffc10, v23
	v_lshrrev_b32_e32 v21, 8, v5
	v_and_or_b32 v13, 0x8000, v17, v13
	v_cndmask_b32_e64 v19, 0, 1, vcc_lo
	v_cmp_ne_u32_e32 vcc_lo, 0, v4
	v_lshl_or_b32 v8, v13, 16, v16
	v_or_b32_e32 v17, v24, v19
	v_cndmask_b32_e64 v4, 0, 1, vcc_lo
	v_lshl_or_b32 v19, v20, 12, v6
	v_cmp_gt_i32_e32 vcc_lo, 1, v20
	v_and_or_b32 v4, 0xffe, v21, v4
	v_sub_nc_u32_e32 v21, 0x3f1, v22
	v_cndmask_b32_e32 v17, v19, v17, vcc_lo
	v_add_co_u32 v2, vcc_lo, v10, s5
	v_or_b32_e32 v19, 0x1000, v4
	v_med3_i32 v21, v21, 0, 13
	v_and_b32_e32 v13, 7, v17
	v_mul_f64 v[0:1], v[0:1], s[2:3]
	v_add_co_ci_u32_e32 v3, vcc_lo, s4, v11, vcc_lo
	v_lshrrev_b32_e32 v16, v21, v19
	v_cmp_lt_i32_e32 vcc_lo, 5, v13
	v_cmp_eq_u32_e64 s0, 3, v13
	v_mul_f16_sdwa v11, v36, v14 dst_sel:DWORD dst_unused:UNUSED_PAD src0_sel:WORD_1 src1_sel:DWORD
	v_lshrrev_b32_e32 v13, 2, v17
	v_lshlrev_b32_e32 v10, v21, v16
	global_store_dword v[2:3], v8, off
	s_or_b32 vcc_lo, s0, vcc_lo
	v_fma_f16 v11, v36, v12, -v11
	v_add_co_ci_u32_e32 v13, vcc_lo, 0, v13, vcc_lo
	v_cmp_ne_u32_e64 s1, v10, v19
	v_add_nc_u32_e32 v12, 0xfffffc10, v22
	v_cmp_ne_u32_e32 vcc_lo, 0, v6
	v_cvt_f32_f16_e32 v11, v11
	v_cndmask_b32_e64 v10, 0, 1, s1
	v_cndmask_b32_e64 v6, 0, 1, vcc_lo
	v_cmp_gt_i32_e32 vcc_lo, 1, v12
	v_and_or_b32 v0, 0x1ff, v1, v0
	v_or_b32_e32 v14, v16, v10
	v_lshl_or_b32 v16, v12, 12, v4
	v_cvt_f64_f32_e32 v[10:11], v11
	v_lshl_or_b32 v6, v6, 9, 0x7c00
	v_lshrrev_b32_e32 v17, 8, v1
	v_bfe_u32 v18, v1, 20, 11
	v_cndmask_b32_e32 v14, v16, v14, vcc_lo
	v_cmp_gt_i32_e32 vcc_lo, 31, v20
	v_and_b32_e32 v16, 7, v14
	v_cndmask_b32_e32 v13, 0x7c00, v13, vcc_lo
	v_cmp_ne_u32_e32 vcc_lo, 0, v0
	v_lshrrev_b32_e32 v14, 2, v14
	v_cmp_eq_u32_e64 s0, 3, v16
	v_cndmask_b32_e64 v0, 0, 1, vcc_lo
	v_cmp_eq_u32_e32 vcc_lo, 0x40f, v20
	v_and_or_b32 v0, 0xffe, v17, v0
	v_cndmask_b32_e32 v6, v13, v6, vcc_lo
	v_cmp_lt_i32_e32 vcc_lo, 5, v16
	v_lshrrev_b32_e32 v16, 16, v15
	v_mul_f64 v[10:11], v[10:11], s[2:3]
	v_sub_nc_u32_e32 v13, 0x3f1, v18
	v_or_b32_e32 v17, 0x1000, v0
	s_or_b32 vcc_lo, s0, vcc_lo
	v_mul_f16_sdwa v19, v35, v16 dst_sel:DWORD dst_unused:UNUSED_PAD src0_sel:WORD_1 src1_sel:DWORD
	v_add_co_ci_u32_e32 v14, vcc_lo, 0, v14, vcc_lo
	v_cmp_ne_u32_e32 vcc_lo, 0, v4
	v_med3_i32 v13, v13, 0, 13
	v_fmac_f16_e32 v19, v35, v15
	v_and_or_b32 v6, 0x8000, v7, v6
	v_mul_f16_sdwa v15, v35, v15 dst_sel:DWORD dst_unused:UNUSED_PAD src0_sel:WORD_1 src1_sel:DWORD
	v_cndmask_b32_e64 v4, 0, 1, vcc_lo
	v_cmp_gt_i32_e32 vcc_lo, 31, v12
	v_lshrrev_b32_e32 v20, v13, v17
	v_cvt_f32_f16_e32 v19, v19
	v_and_b32_e32 v6, 0xffff, v6
	v_lshl_or_b32 v4, v4, 9, 0x7c00
	v_cndmask_b32_e32 v14, 0x7c00, v14, vcc_lo
	v_cmp_eq_u32_e32 vcc_lo, 0x40f, v12
	v_lshlrev_b32_e32 v13, v13, v20
	v_and_or_b32 v10, 0x1ff, v11, v10
	v_cndmask_b32_e32 v12, v14, v4, vcc_lo
	v_lshrrev_b32_e32 v14, 16, v5
	v_cvt_f64_f32_e32 v[4:5], v19
	v_cmp_ne_u32_e32 vcc_lo, v13, v17
	v_add_nc_u32_e32 v17, 0xfffffc10, v18
	v_bfe_u32 v18, v11, 20, 11
	v_and_or_b32 v7, 0x8000, v14, v12
	v_lshrrev_b32_e32 v14, 8, v11
	v_cndmask_b32_e64 v13, 0, 1, vcc_lo
	v_cmp_ne_u32_e32 vcc_lo, 0, v10
	v_sub_nc_u32_e32 v8, 0x3f1, v18
	v_lshl_or_b32 v6, v7, 16, v6
	v_lshrrev_b32_e32 v11, 16, v11
	v_or_b32_e32 v12, v20, v13
	v_cndmask_b32_e64 v10, 0, 1, vcc_lo
	v_lshl_or_b32 v13, v17, 12, v0
	v_cmp_gt_i32_e32 vcc_lo, 1, v17
	v_med3_i32 v8, v8, 0, 13
	v_and_or_b32 v10, 0xffe, v14, v10
	v_cndmask_b32_e32 v12, v13, v12, vcc_lo
	v_add_co_u32 v2, vcc_lo, v2, s5
	v_mul_f64 v[4:5], v[4:5], s[2:3]
	v_or_b32_e32 v13, 0x1000, v10
	v_and_b32_e32 v7, 7, v12
	v_add_co_ci_u32_e32 v3, vcc_lo, s4, v3, vcc_lo
	v_lshrrev_b32_e32 v14, v8, v13
	v_cmp_lt_i32_e32 vcc_lo, 5, v7
	v_cmp_eq_u32_e64 s0, 3, v7
	global_store_dword v[2:3], v6, off
	v_lshrrev_b32_e32 v6, 2, v12
	v_lshlrev_b32_e32 v8, v8, v14
	v_fma_f16 v12, v35, v16, -v15
	s_or_b32 vcc_lo, s0, vcc_lo
	v_add_co_ci_u32_e32 v15, vcc_lo, 0, v6, vcc_lo
	v_cmp_ne_u32_e32 vcc_lo, v8, v13
	ds_read2_b32 v[6:7], v9 offset0:8 offset1:41
	v_cvt_f32_f16_e32 v8, v12
	v_add_nc_u32_e32 v12, 0xfffffc10, v18
	v_cndmask_b32_e64 v13, 0, 1, vcc_lo
	v_and_or_b32 v4, 0x1ff, v5, v4
	v_cmp_gt_i32_e32 vcc_lo, 31, v17
	v_cvt_f64_f32_e32 v[8:9], v8
	v_lshrrev_b32_e32 v16, 8, v5
	v_or_b32_e32 v13, v14, v13
	v_lshl_or_b32 v14, v12, 12, v10
	v_cndmask_b32_e32 v15, 0x7c00, v15, vcc_lo
	v_cmp_ne_u32_e32 vcc_lo, 0, v4
	v_bfe_u32 v18, v5, 20, 11
	v_cndmask_b32_e64 v4, 0, 1, vcc_lo
	v_cmp_ne_u32_e32 vcc_lo, 0, v0
	v_and_or_b32 v4, 0xffe, v16, v4
	v_cndmask_b32_e64 v0, 0, 1, vcc_lo
	v_cmp_gt_i32_e32 vcc_lo, 1, v12
	s_waitcnt lgkmcnt(0)
	v_lshrrev_b32_e32 v16, 16, v6
	v_or_b32_e32 v20, 0x1000, v4
	v_lshl_or_b32 v0, v0, 9, 0x7c00
	v_cndmask_b32_e32 v13, v14, v13, vcc_lo
	v_sub_nc_u32_e32 v14, 0x3f1, v18
	v_cmp_eq_u32_e32 vcc_lo, 0x40f, v17
	v_mul_f16_sdwa v21, v34, v16 dst_sel:DWORD dst_unused:UNUSED_PAD src0_sel:WORD_1 src1_sel:DWORD
	v_mul_f64 v[8:9], v[8:9], s[2:3]
	v_and_b32_e32 v19, 7, v13
	v_med3_i32 v14, v14, 0, 13
	v_cndmask_b32_e32 v15, v15, v0, vcc_lo
	v_lshrrev_b32_e32 v0, 2, v13
	v_fmac_f16_e32 v21, v34, v6
	v_cmp_lt_i32_e32 vcc_lo, 5, v19
	v_cmp_eq_u32_e64 s0, 3, v19
	v_lshrrev_b32_e32 v17, v14, v20
	v_lshrrev_b32_e32 v19, 16, v1
	v_cvt_f32_f16_e32 v1, v21
	v_add_nc_u32_e32 v18, 0xfffffc10, v18
	s_or_b32 vcc_lo, s0, vcc_lo
	v_lshlrev_b32_e32 v13, v14, v17
	v_add_co_ci_u32_e32 v14, vcc_lo, 0, v0, vcc_lo
	v_cmp_ne_u32_e32 vcc_lo, 0, v10
	v_cvt_f64_f32_e32 v[0:1], v1
	v_and_or_b32 v15, 0x8000, v19, v15
	v_mul_f16_sdwa v6, v34, v6 dst_sel:DWORD dst_unused:UNUSED_PAD src0_sel:WORD_1 src1_sel:DWORD
	v_lshrrev_b32_e32 v21, 16, v7
	v_cndmask_b32_e64 v10, 0, 1, vcc_lo
	v_cmp_ne_u32_e32 vcc_lo, v13, v20
	v_and_or_b32 v8, 0x1ff, v9, v8
	v_and_b32_e32 v15, 0xffff, v15
	v_fma_f16 v6, v34, v16, -v6
	v_lshl_or_b32 v10, v10, 9, 0x7c00
	v_cndmask_b32_e64 v13, 0, 1, vcc_lo
	v_cmp_gt_i32_e32 vcc_lo, 31, v12
	v_cvt_f32_f16_e32 v6, v6
	v_or_b32_e32 v13, v17, v13
	v_cndmask_b32_e32 v14, 0x7c00, v14, vcc_lo
	v_cmp_eq_u32_e32 vcc_lo, 0x40f, v12
	v_lshl_or_b32 v17, v18, 12, v4
	v_cndmask_b32_e32 v10, v14, v10, vcc_lo
	v_cmp_gt_i32_e32 vcc_lo, 1, v18
	v_bfe_u32 v14, v9, 20, 11
	v_mul_f64 v[0:1], v[0:1], s[2:3]
	v_and_or_b32 v10, 0x8000, v11, v10
	v_cndmask_b32_e32 v12, v17, v13, vcc_lo
	v_cmp_ne_u32_e32 vcc_lo, 0, v8
	v_lshrrev_b32_e32 v13, 8, v9
	v_lshl_or_b32 v15, v10, 16, v15
	v_and_b32_e32 v17, 7, v12
	v_cndmask_b32_e64 v8, 0, 1, vcc_lo
	v_lshrrev_b32_e32 v12, 2, v12
	v_cmp_lt_i32_e32 vcc_lo, 5, v17
	v_and_or_b32 v8, 0xffe, v13, v8
	v_sub_nc_u32_e32 v13, 0x3f1, v14
	v_cmp_eq_u32_e64 s0, 3, v17
	v_or_b32_e32 v11, 0x1000, v8
	v_med3_i32 v13, v13, 0, 13
	s_or_b32 vcc_lo, s0, vcc_lo
	v_and_or_b32 v0, 0x1ff, v1, v0
	v_add_co_ci_u32_e32 v12, vcc_lo, 0, v12, vcc_lo
	v_lshrrev_b32_e32 v17, v13, v11
	v_cmp_gt_i32_e32 vcc_lo, 31, v18
	v_bfe_u32 v16, v1, 20, 11
	v_lshlrev_b32_e32 v10, v13, v17
	v_cndmask_b32_e32 v12, 0x7c00, v12, vcc_lo
	v_cmp_ne_u32_e32 vcc_lo, v10, v11
	v_cvt_f64_f32_e32 v[10:11], v6
	v_add_nc_u32_e32 v6, 0xfffffc10, v14
	v_lshrrev_b32_e32 v14, 8, v1
	v_cndmask_b32_e64 v13, 0, 1, vcc_lo
	v_cmp_ne_u32_e32 vcc_lo, 0, v0
	v_or_b32_e32 v13, v17, v13
	v_cndmask_b32_e64 v0, 0, 1, vcc_lo
	v_cmp_ne_u32_e32 vcc_lo, 0, v4
	v_lshl_or_b32 v17, v6, 12, v8
	v_and_or_b32 v0, 0xffe, v14, v0
	v_cndmask_b32_e64 v4, 0, 1, vcc_lo
	v_cmp_gt_i32_e32 vcc_lo, 1, v6
	v_sub_nc_u32_e32 v14, 0x3f1, v16
	v_lshl_or_b32 v4, v4, 9, 0x7c00
	v_cndmask_b32_e32 v13, v17, v13, vcc_lo
	v_cmp_eq_u32_e32 vcc_lo, 0x40f, v18
	v_or_b32_e32 v17, 0x1000, v0
	v_med3_i32 v14, v14, 0, 13
	v_lshrrev_b32_e32 v18, 16, v5
	v_and_b32_e32 v19, 7, v13
	v_cndmask_b32_e32 v12, v12, v4, vcc_lo
	v_mul_f64 v[4:5], v[10:11], s[2:3]
	v_lshrrev_b32_e32 v20, v14, v17
	v_add_co_u32 v2, vcc_lo, v2, s5
	v_add_co_ci_u32_e32 v3, vcc_lo, s4, v3, vcc_lo
	v_lshlrev_b32_e32 v11, v14, v20
	v_mul_f16_sdwa v10, v32, v21 dst_sel:DWORD dst_unused:UNUSED_PAD src0_sel:WORD_1 src1_sel:DWORD
	v_cmp_lt_i32_e32 vcc_lo, 5, v19
	v_cmp_eq_u32_e64 s0, 3, v19
	v_lshrrev_b32_e32 v13, 2, v13
	v_cmp_ne_u32_e64 s1, v11, v17
	v_fmac_f16_e32 v10, v32, v7
	v_add_nc_u32_e32 v14, 0xfffffc10, v16
	s_or_b32 vcc_lo, s0, vcc_lo
	v_and_or_b32 v12, 0x8000, v18, v12
	v_add_co_ci_u32_e32 v13, vcc_lo, 0, v13, vcc_lo
	v_cndmask_b32_e64 v11, 0, 1, s1
	v_cmp_ne_u32_e32 vcc_lo, 0, v8
	v_cvt_f32_f16_e32 v10, v10
	v_lshl_or_b32 v17, v14, 12, v0
	v_and_or_b32 v4, 0x1ff, v5, v4
	v_or_b32_e32 v16, v20, v11
	v_cndmask_b32_e64 v8, 0, 1, vcc_lo
	v_cmp_gt_i32_e32 vcc_lo, 1, v14
	v_cvt_f64_f32_e32 v[10:11], v10
	v_bfe_u32 v18, v5, 20, 11
	v_and_b32_e32 v12, 0xffff, v12
	v_lshl_or_b32 v8, v8, 9, 0x7c00
	v_cndmask_b32_e32 v16, v17, v16, vcc_lo
	v_cmp_ne_u32_e32 vcc_lo, 0, v4
	v_lshrrev_b32_e32 v17, 8, v5
	v_mul_f16_sdwa v7, v32, v7 dst_sel:DWORD dst_unused:UNUSED_PAD src0_sel:WORD_1 src1_sel:DWORD
	v_and_b32_e32 v19, 7, v16
	v_cndmask_b32_e64 v4, 0, 1, vcc_lo
	v_cmp_gt_i32_e32 vcc_lo, 31, v6
	v_fma_f16 v7, v32, v21, -v7
	v_cmp_eq_u32_e64 s0, 3, v19
	v_and_or_b32 v4, 0xffe, v17, v4
	v_cndmask_b32_e32 v13, 0x7c00, v13, vcc_lo
	v_cmp_eq_u32_e32 vcc_lo, 0x40f, v6
	v_lshrrev_b32_e32 v17, 16, v9
	v_or_b32_e32 v20, 0x1000, v4
	v_cndmask_b32_e32 v6, v13, v8, vcc_lo
	v_sub_nc_u32_e32 v13, 0x3f1, v18
	v_cmp_lt_i32_e32 vcc_lo, 5, v19
	v_mul_f64 v[8:9], v[10:11], s[2:3]
	v_lshrrev_b32_e32 v11, 2, v16
	v_and_or_b32 v6, 0x8000, v17, v6
	v_med3_i32 v10, v13, 0, 13
	s_or_b32 vcc_lo, s0, vcc_lo
	ds_read_b32 v16, v33 offset:1320
	v_add_co_ci_u32_e32 v11, vcc_lo, 0, v11, vcc_lo
	v_lshrrev_b32_e32 v13, v10, v20
	v_cmp_ne_u32_e32 vcc_lo, 0, v0
	v_lshl_or_b32 v12, v6, 16, v12
	v_add_nc_u32_e32 v17, 0xfffffc10, v18
	v_lshrrev_b32_e32 v18, 16, v1
	v_lshlrev_b32_e32 v6, v10, v13
	v_cndmask_b32_e64 v0, 0, 1, vcc_lo
	v_cmp_gt_i32_e32 vcc_lo, 31, v14
	v_lshl_or_b32 v0, v0, 9, 0x7c00
	v_cndmask_b32_e32 v10, 0x7c00, v11, vcc_lo
	v_cmp_ne_u32_e32 vcc_lo, v6, v20
	v_and_or_b32 v8, 0x1ff, v9, v8
	v_lshl_or_b32 v11, v17, 12, v4
	v_cndmask_b32_e64 v6, 0, 1, vcc_lo
	v_cmp_eq_u32_e32 vcc_lo, 0x40f, v14
	v_bfe_u32 v14, v9, 20, 11
	v_cndmask_b32_e32 v10, v10, v0, vcc_lo
	v_cmp_ne_u32_e32 vcc_lo, 0, v8
	v_or_b32_e32 v0, v13, v6
	v_cvt_f32_f16_e32 v6, v7
	v_lshrrev_b32_e32 v13, 8, v9
	v_and_or_b32 v18, 0x8000, v18, v10
	v_cndmask_b32_e64 v8, 0, 1, vcc_lo
	v_cmp_gt_i32_e32 vcc_lo, 1, v17
	v_cvt_f64_f32_e32 v[6:7], v6
	v_lshrrev_b32_e32 v9, 16, v9
	v_and_or_b32 v8, 0xffe, v13, v8
	v_cndmask_b32_e32 v11, v11, v0, vcc_lo
	v_sub_nc_u32_e32 v0, 0x3f1, v14
	s_waitcnt lgkmcnt(0)
	v_lshrrev_b32_e32 v13, 16, v16
	v_add_nc_u32_e32 v14, 0xfffffc10, v14
	v_or_b32_e32 v20, 0x1000, v8
	v_and_b32_e32 v19, 7, v11
	v_med3_i32 v21, v0, 0, 13
	v_mul_f16_sdwa v22, v31, v13 dst_sel:DWORD dst_unused:UNUSED_PAD src0_sel:WORD_1 src1_sel:DWORD
	v_add_co_u32 v0, vcc_lo, v2, s5
	v_add_co_ci_u32_e32 v1, vcc_lo, s4, v3, vcc_lo
	v_lshrrev_b32_e32 v23, v21, v20
	v_fmac_f16_e32 v22, v31, v16
	v_cmp_lt_i32_e32 vcc_lo, 5, v19
	v_cmp_eq_u32_e64 s0, 3, v19
	v_lshrrev_b32_e32 v10, 2, v11
	v_lshlrev_b32_e32 v19, v21, v23
	v_cvt_f32_f16_e32 v11, v22
	v_mul_f64 v[6:7], v[6:7], s[2:3]
	s_or_b32 vcc_lo, s0, vcc_lo
	v_mul_f16_sdwa v16, v31, v16 dst_sel:DWORD dst_unused:UNUSED_PAD src0_sel:WORD_1 src1_sel:DWORD
	v_add_co_ci_u32_e32 v21, vcc_lo, 0, v10, vcc_lo
	v_cmp_ne_u32_e32 vcc_lo, v19, v20
	v_cvt_f64_f32_e32 v[10:11], v11
	v_lshl_or_b32 v20, v14, 12, v8
	v_fma_f16 v13, v31, v13, -v16
	v_cndmask_b32_e64 v19, 0, 1, vcc_lo
	v_cmp_ne_u32_e32 vcc_lo, 0, v4
	v_cvt_f32_f16_e32 v13, v13
	v_or_b32_e32 v19, v23, v19
	v_cndmask_b32_e64 v4, 0, 1, vcc_lo
	v_cmp_gt_i32_e32 vcc_lo, 31, v17
	v_lshl_or_b32 v4, v4, 9, 0x7c00
	v_cndmask_b32_e32 v16, 0x7c00, v21, vcc_lo
	v_cmp_gt_i32_e32 vcc_lo, 1, v14
	v_and_or_b32 v6, 0x1ff, v7, v6
	v_bfe_u32 v21, v7, 20, 11
	v_cndmask_b32_e32 v19, v20, v19, vcc_lo
	v_cmp_eq_u32_e32 vcc_lo, 0x40f, v17
	v_mul_f64 v[10:11], v[10:11], s[2:3]
	v_lshrrev_b32_e32 v17, 16, v5
	v_lshrrev_b32_e32 v20, 8, v7
	;; [unrolled: 1-line block ×3, first 2 shown]
	v_cndmask_b32_e32 v16, v16, v4, vcc_lo
	v_cvt_f64_f32_e32 v[4:5], v13
	v_cmp_ne_u32_e32 vcc_lo, 0, v6
	v_and_b32_e32 v13, 7, v19
	v_and_or_b32 v16, 0x8000, v17, v16
	v_and_b32_e32 v17, 0xffff, v18
	v_cndmask_b32_e64 v6, 0, 1, vcc_lo
	v_cmp_lt_i32_e32 vcc_lo, 5, v13
	v_cmp_eq_u32_e64 s0, 3, v13
	v_sub_nc_u32_e32 v18, 0x3f1, v21
	v_lshl_or_b32 v13, v16, 16, v17
	v_lshrrev_b32_e32 v16, 2, v19
	v_and_or_b32 v6, 0xffe, v20, v6
	s_or_b32 vcc_lo, s0, vcc_lo
	v_med3_i32 v18, v18, 0, 13
	v_add_co_ci_u32_e32 v16, vcc_lo, 0, v16, vcc_lo
	v_or_b32_e32 v17, 0x1000, v6
	v_cmp_ne_u32_e32 vcc_lo, 0, v8
	v_and_or_b32 v10, 0x1ff, v11, v10
	v_lshrrev_b32_e32 v20, 8, v11
	v_mul_f64 v[4:5], v[4:5], s[2:3]
	v_lshrrev_b32_e32 v19, v18, v17
	v_cndmask_b32_e64 v8, 0, 1, vcc_lo
	v_cmp_gt_i32_e32 vcc_lo, 31, v14
	v_bfe_u32 v22, v11, 20, 11
	v_lshrrev_b32_e32 v11, 16, v11
	v_lshlrev_b32_e32 v18, v18, v19
	v_lshl_or_b32 v8, v8, 9, 0x7c00
	v_cndmask_b32_e32 v16, 0x7c00, v16, vcc_lo
	v_cmp_ne_u32_e32 vcc_lo, 0, v10
	v_cndmask_b32_e64 v10, 0, 1, vcc_lo
	v_cmp_ne_u32_e32 vcc_lo, v18, v17
	v_add_nc_u32_e32 v18, 0xfffffc10, v21
	v_and_or_b32 v10, 0xffe, v20, v10
	v_cndmask_b32_e64 v17, 0, 1, vcc_lo
	v_sub_nc_u32_e32 v20, 0x3f1, v22
	v_cmp_eq_u32_e32 vcc_lo, 0x40f, v14
	v_and_or_b32 v4, 0x1ff, v5, v4
	v_bfe_u32 v21, v5, 20, 11
	v_or_b32_e32 v14, v19, v17
	v_or_b32_e32 v17, 0x1000, v10
	v_cndmask_b32_e32 v8, v16, v8, vcc_lo
	v_lshl_or_b32 v16, v18, 12, v6
	v_med3_i32 v19, v20, 0, 13
	v_cmp_gt_i32_e32 vcc_lo, 1, v18
	v_lshrrev_b32_e32 v20, 8, v5
	v_and_or_b32 v8, 0x8000, v9, v8
	v_sub_nc_u32_e32 v9, 0x3f1, v21
	v_cndmask_b32_e32 v14, v16, v14, vcc_lo
	v_lshrrev_b32_e32 v16, v19, v17
	v_cmp_ne_u32_e32 vcc_lo, 0, v4
	v_med3_i32 v9, v9, 0, 13
	v_and_b32_e32 v23, 7, v14
	v_lshlrev_b32_e32 v19, v19, v16
	v_cndmask_b32_e64 v4, 0, 1, vcc_lo
	v_lshrrev_b32_e32 v14, 2, v14
	v_cmp_lt_i32_e32 vcc_lo, 5, v23
	v_cmp_ne_u32_e64 s0, v19, v17
	v_and_or_b32 v4, 0xffe, v20, v4
	v_add_nc_u32_e32 v20, 0xfffffc10, v22
	v_cndmask_b32_e64 v17, 0, 1, s0
	v_cmp_eq_u32_e64 s0, 3, v23
	v_or_b32_e32 v19, 0x1000, v4
	v_lshl_or_b32 v22, v20, 12, v10
	v_or_b32_e32 v16, v16, v17
	s_or_b32 vcc_lo, s0, vcc_lo
	v_lshrrev_b32_e32 v17, v9, v19
	v_add_co_ci_u32_e32 v14, vcc_lo, 0, v14, vcc_lo
	v_cmp_gt_i32_e32 vcc_lo, 1, v20
	v_lshlrev_b32_e32 v9, v9, v17
	v_cndmask_b32_e32 v16, v22, v16, vcc_lo
	v_cmp_ne_u32_e32 vcc_lo, 0, v6
	v_cndmask_b32_e64 v6, 0, 1, vcc_lo
	v_cmp_ne_u32_e32 vcc_lo, v9, v19
	v_add_nc_u32_e32 v19, 0xfffffc10, v21
	v_and_b32_e32 v21, 7, v16
	v_lshl_or_b32 v6, v6, 9, 0x7c00
	v_cndmask_b32_e64 v9, 0, 1, vcc_lo
	v_cmp_gt_i32_e32 vcc_lo, 31, v18
	v_cmp_gt_i32_e64 s1, 1, v19
	v_cmp_eq_u32_e64 s0, 3, v21
	v_or_b32_e32 v9, v17, v9
	v_lshl_or_b32 v17, v19, 12, v4
	v_cndmask_b32_e32 v14, 0x7c00, v14, vcc_lo
	v_cmp_lt_i32_e32 vcc_lo, 5, v21
	v_cndmask_b32_e64 v9, v17, v9, s1
	v_cmp_eq_u32_e64 s1, 0x40f, v18
	s_or_b32 vcc_lo, s0, vcc_lo
	v_cndmask_b32_e64 v6, v14, v6, s1
	v_lshrrev_b32_e32 v14, 2, v16
	v_and_b32_e32 v16, 7, v9
	v_lshrrev_b32_e32 v9, 2, v9
	v_cmp_gt_i32_e64 s1, 31, v20
	v_and_or_b32 v6, 0x8000, v7, v6
	v_add_co_ci_u32_e32 v14, vcc_lo, 0, v14, vcc_lo
	v_cmp_ne_u32_e32 vcc_lo, 0, v10
	v_cmp_eq_u32_e64 s0, 3, v16
	v_and_b32_e32 v7, 0xffff, v8
	v_cndmask_b32_e64 v14, 0x7c00, v14, s1
	v_cndmask_b32_e64 v10, 0, 1, vcc_lo
	v_cmp_lt_i32_e32 vcc_lo, 5, v16
	v_lshl_or_b32 v10, v10, 9, 0x7c00
	s_or_b32 vcc_lo, s0, vcc_lo
	v_add_co_ci_u32_e32 v9, vcc_lo, 0, v9, vcc_lo
	v_cmp_ne_u32_e32 vcc_lo, 0, v4
	v_cndmask_b32_e64 v4, 0, 1, vcc_lo
	v_cmp_eq_u32_e32 vcc_lo, 0x40f, v20
	v_lshl_or_b32 v4, v4, 9, 0x7c00
	v_cndmask_b32_e32 v10, v14, v10, vcc_lo
	v_cmp_gt_i32_e32 vcc_lo, 31, v19
	v_and_or_b32 v8, 0x8000, v11, v10
	v_cndmask_b32_e32 v9, 0x7c00, v9, vcc_lo
	v_cmp_eq_u32_e32 vcc_lo, 0x40f, v19
	v_lshrrev_b32_e32 v10, 16, v5
	v_lshl_or_b32 v11, v6, 16, v7
	v_and_b32_e32 v8, 0xffff, v8
	v_cndmask_b32_e32 v9, v9, v4, vcc_lo
	v_add_co_u32 v4, vcc_lo, v0, s5
	v_add_co_ci_u32_e32 v5, vcc_lo, s4, v1, vcc_lo
	v_and_or_b32 v9, 0x8000, v10, v9
	v_add_co_u32 v6, vcc_lo, v4, s5
	v_add_co_ci_u32_e32 v7, vcc_lo, s4, v5, vcc_lo
	v_lshl_or_b32 v10, v9, 16, v8
	v_add_co_u32 v8, vcc_lo, v6, s5
	v_add_co_ci_u32_e32 v9, vcc_lo, s4, v7, vcc_lo
	global_store_dword v[2:3], v15, off
	global_store_dword v[0:1], v12, off
	;; [unrolled: 1-line block ×5, first 2 shown]
.LBB0_10:
	s_endpgm
	.section	.rodata,"a",@progbits
	.p2align	6, 0x0
	.amdhsa_kernel bluestein_single_fwd_len363_dim1_half_op_CI_CI
		.amdhsa_group_segment_fixed_size 4356
		.amdhsa_private_segment_fixed_size 0
		.amdhsa_kernarg_size 104
		.amdhsa_user_sgpr_count 6
		.amdhsa_user_sgpr_private_segment_buffer 1
		.amdhsa_user_sgpr_dispatch_ptr 0
		.amdhsa_user_sgpr_queue_ptr 0
		.amdhsa_user_sgpr_kernarg_segment_ptr 1
		.amdhsa_user_sgpr_dispatch_id 0
		.amdhsa_user_sgpr_flat_scratch_init 0
		.amdhsa_user_sgpr_private_segment_size 0
		.amdhsa_wavefront_size32 1
		.amdhsa_uses_dynamic_stack 0
		.amdhsa_system_sgpr_private_segment_wavefront_offset 0
		.amdhsa_system_sgpr_workgroup_id_x 1
		.amdhsa_system_sgpr_workgroup_id_y 0
		.amdhsa_system_sgpr_workgroup_id_z 0
		.amdhsa_system_sgpr_workgroup_info 0
		.amdhsa_system_vgpr_workitem_id 0
		.amdhsa_next_free_vgpr 163
		.amdhsa_next_free_sgpr 20
		.amdhsa_reserve_vcc 1
		.amdhsa_reserve_flat_scratch 0
		.amdhsa_float_round_mode_32 0
		.amdhsa_float_round_mode_16_64 0
		.amdhsa_float_denorm_mode_32 3
		.amdhsa_float_denorm_mode_16_64 3
		.amdhsa_dx10_clamp 1
		.amdhsa_ieee_mode 1
		.amdhsa_fp16_overflow 0
		.amdhsa_workgroup_processor_mode 1
		.amdhsa_memory_ordered 1
		.amdhsa_forward_progress 0
		.amdhsa_shared_vgpr_count 0
		.amdhsa_exception_fp_ieee_invalid_op 0
		.amdhsa_exception_fp_denorm_src 0
		.amdhsa_exception_fp_ieee_div_zero 0
		.amdhsa_exception_fp_ieee_overflow 0
		.amdhsa_exception_fp_ieee_underflow 0
		.amdhsa_exception_fp_ieee_inexact 0
		.amdhsa_exception_int_div_zero 0
	.end_amdhsa_kernel
	.text
.Lfunc_end0:
	.size	bluestein_single_fwd_len363_dim1_half_op_CI_CI, .Lfunc_end0-bluestein_single_fwd_len363_dim1_half_op_CI_CI
                                        ; -- End function
	.section	.AMDGPU.csdata,"",@progbits
; Kernel info:
; codeLenInByte = 19836
; NumSgprs: 22
; NumVgprs: 163
; ScratchSize: 0
; MemoryBound: 0
; FloatMode: 240
; IeeeMode: 1
; LDSByteSize: 4356 bytes/workgroup (compile time only)
; SGPRBlocks: 2
; VGPRBlocks: 20
; NumSGPRsForWavesPerEU: 22
; NumVGPRsForWavesPerEU: 163
; Occupancy: 5
; WaveLimiterHint : 1
; COMPUTE_PGM_RSRC2:SCRATCH_EN: 0
; COMPUTE_PGM_RSRC2:USER_SGPR: 6
; COMPUTE_PGM_RSRC2:TRAP_HANDLER: 0
; COMPUTE_PGM_RSRC2:TGID_X_EN: 1
; COMPUTE_PGM_RSRC2:TGID_Y_EN: 0
; COMPUTE_PGM_RSRC2:TGID_Z_EN: 0
; COMPUTE_PGM_RSRC2:TIDIG_COMP_CNT: 0
	.text
	.p2alignl 6, 3214868480
	.fill 48, 4, 3214868480
	.type	__hip_cuid_4be6b1428be97ac7,@object ; @__hip_cuid_4be6b1428be97ac7
	.section	.bss,"aw",@nobits
	.globl	__hip_cuid_4be6b1428be97ac7
__hip_cuid_4be6b1428be97ac7:
	.byte	0                               ; 0x0
	.size	__hip_cuid_4be6b1428be97ac7, 1

	.ident	"AMD clang version 19.0.0git (https://github.com/RadeonOpenCompute/llvm-project roc-6.4.0 25133 c7fe45cf4b819c5991fe208aaa96edf142730f1d)"
	.section	".note.GNU-stack","",@progbits
	.addrsig
	.addrsig_sym __hip_cuid_4be6b1428be97ac7
	.amdgpu_metadata
---
amdhsa.kernels:
  - .args:
      - .actual_access:  read_only
        .address_space:  global
        .offset:         0
        .size:           8
        .value_kind:     global_buffer
      - .actual_access:  read_only
        .address_space:  global
        .offset:         8
        .size:           8
        .value_kind:     global_buffer
      - .actual_access:  read_only
        .address_space:  global
        .offset:         16
        .size:           8
        .value_kind:     global_buffer
      - .actual_access:  read_only
        .address_space:  global
        .offset:         24
        .size:           8
        .value_kind:     global_buffer
      - .actual_access:  read_only
        .address_space:  global
        .offset:         32
        .size:           8
        .value_kind:     global_buffer
      - .offset:         40
        .size:           8
        .value_kind:     by_value
      - .address_space:  global
        .offset:         48
        .size:           8
        .value_kind:     global_buffer
      - .address_space:  global
        .offset:         56
        .size:           8
        .value_kind:     global_buffer
      - .address_space:  global
        .offset:         64
        .size:           8
        .value_kind:     global_buffer
      - .address_space:  global
        .offset:         72
        .size:           8
        .value_kind:     global_buffer
      - .offset:         80
        .size:           4
        .value_kind:     by_value
      - .address_space:  global
        .offset:         88
        .size:           8
        .value_kind:     global_buffer
      - .address_space:  global
        .offset:         96
        .size:           8
        .value_kind:     global_buffer
    .group_segment_fixed_size: 4356
    .kernarg_segment_align: 8
    .kernarg_segment_size: 104
    .language:       OpenCL C
    .language_version:
      - 2
      - 0
    .max_flat_workgroup_size: 99
    .name:           bluestein_single_fwd_len363_dim1_half_op_CI_CI
    .private_segment_fixed_size: 0
    .sgpr_count:     22
    .sgpr_spill_count: 0
    .symbol:         bluestein_single_fwd_len363_dim1_half_op_CI_CI.kd
    .uniform_work_group_size: 1
    .uses_dynamic_stack: false
    .vgpr_count:     163
    .vgpr_spill_count: 0
    .wavefront_size: 32
    .workgroup_processor_mode: 1
amdhsa.target:   amdgcn-amd-amdhsa--gfx1030
amdhsa.version:
  - 1
  - 2
...

	.end_amdgpu_metadata
